;; amdgpu-corpus repo=ROCm/composable_kernel kind=compiled arch=gfx950 opt=O3
	.amdgcn_target "amdgcn-amd-amdhsa--gfx950"
	.amdhsa_code_object_version 6
	.section	.text._ZN2ckL12flush_icacheEv,"axG",@progbits,_ZN2ckL12flush_icacheEv,comdat
	.globl	_ZN2ckL12flush_icacheEv         ; -- Begin function _ZN2ckL12flush_icacheEv
	.p2align	8
	.type	_ZN2ckL12flush_icacheEv,@function
_ZN2ckL12flush_icacheEv:                ; @_ZN2ckL12flush_icacheEv
; %bb.0:
	;;#ASMSTART
	s_icache_inv 
	s_nop 0 
	s_nop 0 
	;; [unrolled: 1-line block ×16, first 2 shown]
	
	;;#ASMEND
	s_endpgm
	.section	.rodata,"a",@progbits
	.p2align	6, 0x0
	.amdhsa_kernel _ZN2ckL12flush_icacheEv
		.amdhsa_group_segment_fixed_size 0
		.amdhsa_private_segment_fixed_size 0
		.amdhsa_kernarg_size 0
		.amdhsa_user_sgpr_count 0
		.amdhsa_user_sgpr_dispatch_ptr 0
		.amdhsa_user_sgpr_queue_ptr 0
		.amdhsa_user_sgpr_kernarg_segment_ptr 0
		.amdhsa_user_sgpr_dispatch_id 0
		.amdhsa_user_sgpr_kernarg_preload_length 0
		.amdhsa_user_sgpr_kernarg_preload_offset 0
		.amdhsa_user_sgpr_private_segment_size 0
		.amdhsa_uses_dynamic_stack 0
		.amdhsa_enable_private_segment 0
		.amdhsa_system_sgpr_workgroup_id_x 1
		.amdhsa_system_sgpr_workgroup_id_y 0
		.amdhsa_system_sgpr_workgroup_id_z 0
		.amdhsa_system_sgpr_workgroup_info 0
		.amdhsa_system_vgpr_workitem_id 0
		.amdhsa_next_free_vgpr 1
		.amdhsa_next_free_sgpr 0
		.amdhsa_accum_offset 4
		.amdhsa_reserve_vcc 0
		.amdhsa_float_round_mode_32 0
		.amdhsa_float_round_mode_16_64 0
		.amdhsa_float_denorm_mode_32 3
		.amdhsa_float_denorm_mode_16_64 3
		.amdhsa_dx10_clamp 1
		.amdhsa_ieee_mode 1
		.amdhsa_fp16_overflow 0
		.amdhsa_tg_split 0
		.amdhsa_exception_fp_ieee_invalid_op 0
		.amdhsa_exception_fp_denorm_src 0
		.amdhsa_exception_fp_ieee_div_zero 0
		.amdhsa_exception_fp_ieee_overflow 0
		.amdhsa_exception_fp_ieee_underflow 0
		.amdhsa_exception_fp_ieee_inexact 0
		.amdhsa_exception_int_div_zero 0
	.end_amdhsa_kernel
	.section	.text._ZN2ckL12flush_icacheEv,"axG",@progbits,_ZN2ckL12flush_icacheEv,comdat
.Lfunc_end0:
	.size	_ZN2ckL12flush_icacheEv, .Lfunc_end0-_ZN2ckL12flush_icacheEv
                                        ; -- End function
	.set _ZN2ckL12flush_icacheEv.num_vgpr, 0
	.set _ZN2ckL12flush_icacheEv.num_agpr, 0
	.set _ZN2ckL12flush_icacheEv.numbered_sgpr, 0
	.set _ZN2ckL12flush_icacheEv.num_named_barrier, 0
	.set _ZN2ckL12flush_icacheEv.private_seg_size, 0
	.set _ZN2ckL12flush_icacheEv.uses_vcc, 0
	.set _ZN2ckL12flush_icacheEv.uses_flat_scratch, 0
	.set _ZN2ckL12flush_icacheEv.has_dyn_sized_stack, 0
	.set _ZN2ckL12flush_icacheEv.has_recursion, 0
	.set _ZN2ckL12flush_icacheEv.has_indirect_call, 0
	.section	.AMDGPU.csdata,"",@progbits
; Kernel info:
; codeLenInByte = 276
; TotalNumSgprs: 6
; NumVgprs: 0
; NumAgprs: 0
; TotalNumVgprs: 0
; ScratchSize: 0
; MemoryBound: 0
; FloatMode: 240
; IeeeMode: 1
; LDSByteSize: 0 bytes/workgroup (compile time only)
; SGPRBlocks: 0
; VGPRBlocks: 0
; NumSGPRsForWavesPerEU: 6
; NumVGPRsForWavesPerEU: 1
; AccumOffset: 4
; Occupancy: 8
; WaveLimiterHint : 0
; COMPUTE_PGM_RSRC2:SCRATCH_EN: 0
; COMPUTE_PGM_RSRC2:USER_SGPR: 0
; COMPUTE_PGM_RSRC2:TRAP_HANDLER: 0
; COMPUTE_PGM_RSRC2:TGID_X_EN: 1
; COMPUTE_PGM_RSRC2:TGID_Y_EN: 0
; COMPUTE_PGM_RSRC2:TGID_Z_EN: 0
; COMPUTE_PGM_RSRC2:TIDIG_COMP_CNT: 0
; COMPUTE_PGM_RSRC3_GFX90A:ACCUM_OFFSET: 0
; COMPUTE_PGM_RSRC3_GFX90A:TG_SPLIT: 0
	.section	.text._ZN2ck37kernel_gemm_xdl_waveletmodel_cshuffleINS_53GridwiseGemm_k0mk1_k0nk1_mn_xdl_waveletmodel_cshuffleIDF16_fDF16_DF16_NS_16tensor_operation12element_wise11PassThroughES4_S4_LNS_25InMemoryDataOperationEnumE0ENS_16TensorDescriptorINS_5TupleIJNS_5EmbedINS7_IJiiEEENS7_IJiNS_17integral_constantIiLi1EEEEEELb0EEENS_11PassThroughIiEESF_EEENS7_IJNS_8SequenceIJLi0EEEENSH_IJLi1EEEENSH_IJLi2EEEEEEENS7_IJNSH_IJLi1ELi2EEEENSH_IJLi3EEEENSH_IJLi4EEEEEEENSH_IJLi3ELi4EEEElEESR_SR_Li1ELi256ELi256ELi256ELi128ELi32ELi8ELi8ELi16ELi16ELi8ELi4ENSH_IJLi4ELi64ELi1EEEENSH_IJLi1ELi0ELi2EEEEST_Li2ELi8ELi8ELb0ELi1ESS_ST_ST_Li2ELi8ELi8ELb0ELi1ELi1ELi1ENSH_IJLi1ELi32ELi1ELi8EEEELi4EEEDF16_DF16_S4_S4_S4_NS6_INS7_IJSD_SF_SF_NS_7UnMergeINS7_IJiNSA_IiLi8EEEEEELb0EEESF_EEENS7_IJSI_SJ_SK_SO_SN_EEENS7_IJSM_SN_SO_NSH_IJLi5ELi6EEEENSH_IJLi7EEEEEEENSH_IJLi5ELi7ELi6EEEElEES16_NS6_INS7_IJSD_SF_SF_NSW_INS7_IJiNSA_IiLi256EEEEEELb0EEENSW_INS7_IJiNSA_IiLi128EEEEEELb0EEEEEENS7_IJSI_SJ_SK_SN_SO_EEENS7_IJSM_SN_SO_S12_NSH_IJLi7ELi8EEEEEEENSH_IJLi5ELi6ELi7ELi8EEEElEENS_13TensorAdaptorINS7_IJNSW_ISC_Lb0EEES1K_NS_23Merge_v2_magic_divisionINS7_IJiiSB_SB_EEEEEEEENS7_IJSI_SJ_NSH_IJLi2ELi3ELi4ELi5EEEEEEENS7_IJNSH_IJLi2ELi4EEEENSH_IJLi3ELi5EEEENSH_IJLi6EEEEEEENSH_IJLi0ELi1EEEES1T_EELb1EEEvPKT0_S1Z_PT1_T2_T3_T4_T5_T6_T7_T8_,"axG",@progbits,_ZN2ck37kernel_gemm_xdl_waveletmodel_cshuffleINS_53GridwiseGemm_k0mk1_k0nk1_mn_xdl_waveletmodel_cshuffleIDF16_fDF16_DF16_NS_16tensor_operation12element_wise11PassThroughES4_S4_LNS_25InMemoryDataOperationEnumE0ENS_16TensorDescriptorINS_5TupleIJNS_5EmbedINS7_IJiiEEENS7_IJiNS_17integral_constantIiLi1EEEEEELb0EEENS_11PassThroughIiEESF_EEENS7_IJNS_8SequenceIJLi0EEEENSH_IJLi1EEEENSH_IJLi2EEEEEEENS7_IJNSH_IJLi1ELi2EEEENSH_IJLi3EEEENSH_IJLi4EEEEEEENSH_IJLi3ELi4EEEElEESR_SR_Li1ELi256ELi256ELi256ELi128ELi32ELi8ELi8ELi16ELi16ELi8ELi4ENSH_IJLi4ELi64ELi1EEEENSH_IJLi1ELi0ELi2EEEEST_Li2ELi8ELi8ELb0ELi1ESS_ST_ST_Li2ELi8ELi8ELb0ELi1ELi1ELi1ENSH_IJLi1ELi32ELi1ELi8EEEELi4EEEDF16_DF16_S4_S4_S4_NS6_INS7_IJSD_SF_SF_NS_7UnMergeINS7_IJiNSA_IiLi8EEEEEELb0EEESF_EEENS7_IJSI_SJ_SK_SO_SN_EEENS7_IJSM_SN_SO_NSH_IJLi5ELi6EEEENSH_IJLi7EEEEEEENSH_IJLi5ELi7ELi6EEEElEES16_NS6_INS7_IJSD_SF_SF_NSW_INS7_IJiNSA_IiLi256EEEEEELb0EEENSW_INS7_IJiNSA_IiLi128EEEEEELb0EEEEEENS7_IJSI_SJ_SK_SN_SO_EEENS7_IJSM_SN_SO_S12_NSH_IJLi7ELi8EEEEEEENSH_IJLi5ELi6ELi7ELi8EEEElEENS_13TensorAdaptorINS7_IJNSW_ISC_Lb0EEES1K_NS_23Merge_v2_magic_divisionINS7_IJiiSB_SB_EEEEEEEENS7_IJSI_SJ_NSH_IJLi2ELi3ELi4ELi5EEEEEEENS7_IJNSH_IJLi2ELi4EEEENSH_IJLi3ELi5EEEENSH_IJLi6EEEEEEENSH_IJLi0ELi1EEEES1T_EELb1EEEvPKT0_S1Z_PT1_T2_T3_T4_T5_T6_T7_T8_,comdat
	.protected	_ZN2ck37kernel_gemm_xdl_waveletmodel_cshuffleINS_53GridwiseGemm_k0mk1_k0nk1_mn_xdl_waveletmodel_cshuffleIDF16_fDF16_DF16_NS_16tensor_operation12element_wise11PassThroughES4_S4_LNS_25InMemoryDataOperationEnumE0ENS_16TensorDescriptorINS_5TupleIJNS_5EmbedINS7_IJiiEEENS7_IJiNS_17integral_constantIiLi1EEEEEELb0EEENS_11PassThroughIiEESF_EEENS7_IJNS_8SequenceIJLi0EEEENSH_IJLi1EEEENSH_IJLi2EEEEEEENS7_IJNSH_IJLi1ELi2EEEENSH_IJLi3EEEENSH_IJLi4EEEEEEENSH_IJLi3ELi4EEEElEESR_SR_Li1ELi256ELi256ELi256ELi128ELi32ELi8ELi8ELi16ELi16ELi8ELi4ENSH_IJLi4ELi64ELi1EEEENSH_IJLi1ELi0ELi2EEEEST_Li2ELi8ELi8ELb0ELi1ESS_ST_ST_Li2ELi8ELi8ELb0ELi1ELi1ELi1ENSH_IJLi1ELi32ELi1ELi8EEEELi4EEEDF16_DF16_S4_S4_S4_NS6_INS7_IJSD_SF_SF_NS_7UnMergeINS7_IJiNSA_IiLi8EEEEEELb0EEESF_EEENS7_IJSI_SJ_SK_SO_SN_EEENS7_IJSM_SN_SO_NSH_IJLi5ELi6EEEENSH_IJLi7EEEEEEENSH_IJLi5ELi7ELi6EEEElEES16_NS6_INS7_IJSD_SF_SF_NSW_INS7_IJiNSA_IiLi256EEEEEELb0EEENSW_INS7_IJiNSA_IiLi128EEEEEELb0EEEEEENS7_IJSI_SJ_SK_SN_SO_EEENS7_IJSM_SN_SO_S12_NSH_IJLi7ELi8EEEEEEENSH_IJLi5ELi6ELi7ELi8EEEElEENS_13TensorAdaptorINS7_IJNSW_ISC_Lb0EEES1K_NS_23Merge_v2_magic_divisionINS7_IJiiSB_SB_EEEEEEEENS7_IJSI_SJ_NSH_IJLi2ELi3ELi4ELi5EEEEEEENS7_IJNSH_IJLi2ELi4EEEENSH_IJLi3ELi5EEEENSH_IJLi6EEEEEEENSH_IJLi0ELi1EEEES1T_EELb1EEEvPKT0_S1Z_PT1_T2_T3_T4_T5_T6_T7_T8_ ; -- Begin function _ZN2ck37kernel_gemm_xdl_waveletmodel_cshuffleINS_53GridwiseGemm_k0mk1_k0nk1_mn_xdl_waveletmodel_cshuffleIDF16_fDF16_DF16_NS_16tensor_operation12element_wise11PassThroughES4_S4_LNS_25InMemoryDataOperationEnumE0ENS_16TensorDescriptorINS_5TupleIJNS_5EmbedINS7_IJiiEEENS7_IJiNS_17integral_constantIiLi1EEEEEELb0EEENS_11PassThroughIiEESF_EEENS7_IJNS_8SequenceIJLi0EEEENSH_IJLi1EEEENSH_IJLi2EEEEEEENS7_IJNSH_IJLi1ELi2EEEENSH_IJLi3EEEENSH_IJLi4EEEEEEENSH_IJLi3ELi4EEEElEESR_SR_Li1ELi256ELi256ELi256ELi128ELi32ELi8ELi8ELi16ELi16ELi8ELi4ENSH_IJLi4ELi64ELi1EEEENSH_IJLi1ELi0ELi2EEEEST_Li2ELi8ELi8ELb0ELi1ESS_ST_ST_Li2ELi8ELi8ELb0ELi1ELi1ELi1ENSH_IJLi1ELi32ELi1ELi8EEEELi4EEEDF16_DF16_S4_S4_S4_NS6_INS7_IJSD_SF_SF_NS_7UnMergeINS7_IJiNSA_IiLi8EEEEEELb0EEESF_EEENS7_IJSI_SJ_SK_SO_SN_EEENS7_IJSM_SN_SO_NSH_IJLi5ELi6EEEENSH_IJLi7EEEEEEENSH_IJLi5ELi7ELi6EEEElEES16_NS6_INS7_IJSD_SF_SF_NSW_INS7_IJiNSA_IiLi256EEEEEELb0EEENSW_INS7_IJiNSA_IiLi128EEEEEELb0EEEEEENS7_IJSI_SJ_SK_SN_SO_EEENS7_IJSM_SN_SO_S12_NSH_IJLi7ELi8EEEEEEENSH_IJLi5ELi6ELi7ELi8EEEElEENS_13TensorAdaptorINS7_IJNSW_ISC_Lb0EEES1K_NS_23Merge_v2_magic_divisionINS7_IJiiSB_SB_EEEEEEEENS7_IJSI_SJ_NSH_IJLi2ELi3ELi4ELi5EEEEEEENS7_IJNSH_IJLi2ELi4EEEENSH_IJLi3ELi5EEEENSH_IJLi6EEEEEEENSH_IJLi0ELi1EEEES1T_EELb1EEEvPKT0_S1Z_PT1_T2_T3_T4_T5_T6_T7_T8_
	.globl	_ZN2ck37kernel_gemm_xdl_waveletmodel_cshuffleINS_53GridwiseGemm_k0mk1_k0nk1_mn_xdl_waveletmodel_cshuffleIDF16_fDF16_DF16_NS_16tensor_operation12element_wise11PassThroughES4_S4_LNS_25InMemoryDataOperationEnumE0ENS_16TensorDescriptorINS_5TupleIJNS_5EmbedINS7_IJiiEEENS7_IJiNS_17integral_constantIiLi1EEEEEELb0EEENS_11PassThroughIiEESF_EEENS7_IJNS_8SequenceIJLi0EEEENSH_IJLi1EEEENSH_IJLi2EEEEEEENS7_IJNSH_IJLi1ELi2EEEENSH_IJLi3EEEENSH_IJLi4EEEEEEENSH_IJLi3ELi4EEEElEESR_SR_Li1ELi256ELi256ELi256ELi128ELi32ELi8ELi8ELi16ELi16ELi8ELi4ENSH_IJLi4ELi64ELi1EEEENSH_IJLi1ELi0ELi2EEEEST_Li2ELi8ELi8ELb0ELi1ESS_ST_ST_Li2ELi8ELi8ELb0ELi1ELi1ELi1ENSH_IJLi1ELi32ELi1ELi8EEEELi4EEEDF16_DF16_S4_S4_S4_NS6_INS7_IJSD_SF_SF_NS_7UnMergeINS7_IJiNSA_IiLi8EEEEEELb0EEESF_EEENS7_IJSI_SJ_SK_SO_SN_EEENS7_IJSM_SN_SO_NSH_IJLi5ELi6EEEENSH_IJLi7EEEEEEENSH_IJLi5ELi7ELi6EEEElEES16_NS6_INS7_IJSD_SF_SF_NSW_INS7_IJiNSA_IiLi256EEEEEELb0EEENSW_INS7_IJiNSA_IiLi128EEEEEELb0EEEEEENS7_IJSI_SJ_SK_SN_SO_EEENS7_IJSM_SN_SO_S12_NSH_IJLi7ELi8EEEEEEENSH_IJLi5ELi6ELi7ELi8EEEElEENS_13TensorAdaptorINS7_IJNSW_ISC_Lb0EEES1K_NS_23Merge_v2_magic_divisionINS7_IJiiSB_SB_EEEEEEEENS7_IJSI_SJ_NSH_IJLi2ELi3ELi4ELi5EEEEEEENS7_IJNSH_IJLi2ELi4EEEENSH_IJLi3ELi5EEEENSH_IJLi6EEEEEEENSH_IJLi0ELi1EEEES1T_EELb1EEEvPKT0_S1Z_PT1_T2_T3_T4_T5_T6_T7_T8_
	.p2align	8
	.type	_ZN2ck37kernel_gemm_xdl_waveletmodel_cshuffleINS_53GridwiseGemm_k0mk1_k0nk1_mn_xdl_waveletmodel_cshuffleIDF16_fDF16_DF16_NS_16tensor_operation12element_wise11PassThroughES4_S4_LNS_25InMemoryDataOperationEnumE0ENS_16TensorDescriptorINS_5TupleIJNS_5EmbedINS7_IJiiEEENS7_IJiNS_17integral_constantIiLi1EEEEEELb0EEENS_11PassThroughIiEESF_EEENS7_IJNS_8SequenceIJLi0EEEENSH_IJLi1EEEENSH_IJLi2EEEEEEENS7_IJNSH_IJLi1ELi2EEEENSH_IJLi3EEEENSH_IJLi4EEEEEEENSH_IJLi3ELi4EEEElEESR_SR_Li1ELi256ELi256ELi256ELi128ELi32ELi8ELi8ELi16ELi16ELi8ELi4ENSH_IJLi4ELi64ELi1EEEENSH_IJLi1ELi0ELi2EEEEST_Li2ELi8ELi8ELb0ELi1ESS_ST_ST_Li2ELi8ELi8ELb0ELi1ELi1ELi1ENSH_IJLi1ELi32ELi1ELi8EEEELi4EEEDF16_DF16_S4_S4_S4_NS6_INS7_IJSD_SF_SF_NS_7UnMergeINS7_IJiNSA_IiLi8EEEEEELb0EEESF_EEENS7_IJSI_SJ_SK_SO_SN_EEENS7_IJSM_SN_SO_NSH_IJLi5ELi6EEEENSH_IJLi7EEEEEEENSH_IJLi5ELi7ELi6EEEElEES16_NS6_INS7_IJSD_SF_SF_NSW_INS7_IJiNSA_IiLi256EEEEEELb0EEENSW_INS7_IJiNSA_IiLi128EEEEEELb0EEEEEENS7_IJSI_SJ_SK_SN_SO_EEENS7_IJSM_SN_SO_S12_NSH_IJLi7ELi8EEEEEEENSH_IJLi5ELi6ELi7ELi8EEEElEENS_13TensorAdaptorINS7_IJNSW_ISC_Lb0EEES1K_NS_23Merge_v2_magic_divisionINS7_IJiiSB_SB_EEEEEEEENS7_IJSI_SJ_NSH_IJLi2ELi3ELi4ELi5EEEEEEENS7_IJNSH_IJLi2ELi4EEEENSH_IJLi3ELi5EEEENSH_IJLi6EEEEEEENSH_IJLi0ELi1EEEES1T_EELb1EEEvPKT0_S1Z_PT1_T2_T3_T4_T5_T6_T7_T8_,@function
_ZN2ck37kernel_gemm_xdl_waveletmodel_cshuffleINS_53GridwiseGemm_k0mk1_k0nk1_mn_xdl_waveletmodel_cshuffleIDF16_fDF16_DF16_NS_16tensor_operation12element_wise11PassThroughES4_S4_LNS_25InMemoryDataOperationEnumE0ENS_16TensorDescriptorINS_5TupleIJNS_5EmbedINS7_IJiiEEENS7_IJiNS_17integral_constantIiLi1EEEEEELb0EEENS_11PassThroughIiEESF_EEENS7_IJNS_8SequenceIJLi0EEEENSH_IJLi1EEEENSH_IJLi2EEEEEEENS7_IJNSH_IJLi1ELi2EEEENSH_IJLi3EEEENSH_IJLi4EEEEEEENSH_IJLi3ELi4EEEElEESR_SR_Li1ELi256ELi256ELi256ELi128ELi32ELi8ELi8ELi16ELi16ELi8ELi4ENSH_IJLi4ELi64ELi1EEEENSH_IJLi1ELi0ELi2EEEEST_Li2ELi8ELi8ELb0ELi1ESS_ST_ST_Li2ELi8ELi8ELb0ELi1ELi1ELi1ENSH_IJLi1ELi32ELi1ELi8EEEELi4EEEDF16_DF16_S4_S4_S4_NS6_INS7_IJSD_SF_SF_NS_7UnMergeINS7_IJiNSA_IiLi8EEEEEELb0EEESF_EEENS7_IJSI_SJ_SK_SO_SN_EEENS7_IJSM_SN_SO_NSH_IJLi5ELi6EEEENSH_IJLi7EEEEEEENSH_IJLi5ELi7ELi6EEEElEES16_NS6_INS7_IJSD_SF_SF_NSW_INS7_IJiNSA_IiLi256EEEEEELb0EEENSW_INS7_IJiNSA_IiLi128EEEEEELb0EEEEEENS7_IJSI_SJ_SK_SN_SO_EEENS7_IJSM_SN_SO_S12_NSH_IJLi7ELi8EEEEEEENSH_IJLi5ELi6ELi7ELi8EEEElEENS_13TensorAdaptorINS7_IJNSW_ISC_Lb0EEES1K_NS_23Merge_v2_magic_divisionINS7_IJiiSB_SB_EEEEEEEENS7_IJSI_SJ_NSH_IJLi2ELi3ELi4ELi5EEEEEEENS7_IJNSH_IJLi2ELi4EEEENSH_IJLi3ELi5EEEENSH_IJLi6EEEEEEENSH_IJLi0ELi1EEEES1T_EELb1EEEvPKT0_S1Z_PT1_T2_T3_T4_T5_T6_T7_T8_: ; @_ZN2ck37kernel_gemm_xdl_waveletmodel_cshuffleINS_53GridwiseGemm_k0mk1_k0nk1_mn_xdl_waveletmodel_cshuffleIDF16_fDF16_DF16_NS_16tensor_operation12element_wise11PassThroughES4_S4_LNS_25InMemoryDataOperationEnumE0ENS_16TensorDescriptorINS_5TupleIJNS_5EmbedINS7_IJiiEEENS7_IJiNS_17integral_constantIiLi1EEEEEELb0EEENS_11PassThroughIiEESF_EEENS7_IJNS_8SequenceIJLi0EEEENSH_IJLi1EEEENSH_IJLi2EEEEEEENS7_IJNSH_IJLi1ELi2EEEENSH_IJLi3EEEENSH_IJLi4EEEEEEENSH_IJLi3ELi4EEEElEESR_SR_Li1ELi256ELi256ELi256ELi128ELi32ELi8ELi8ELi16ELi16ELi8ELi4ENSH_IJLi4ELi64ELi1EEEENSH_IJLi1ELi0ELi2EEEEST_Li2ELi8ELi8ELb0ELi1ESS_ST_ST_Li2ELi8ELi8ELb0ELi1ELi1ELi1ENSH_IJLi1ELi32ELi1ELi8EEEELi4EEEDF16_DF16_S4_S4_S4_NS6_INS7_IJSD_SF_SF_NS_7UnMergeINS7_IJiNSA_IiLi8EEEEEELb0EEESF_EEENS7_IJSI_SJ_SK_SO_SN_EEENS7_IJSM_SN_SO_NSH_IJLi5ELi6EEEENSH_IJLi7EEEEEEENSH_IJLi5ELi7ELi6EEEElEES16_NS6_INS7_IJSD_SF_SF_NSW_INS7_IJiNSA_IiLi256EEEEEELb0EEENSW_INS7_IJiNSA_IiLi128EEEEEELb0EEEEEENS7_IJSI_SJ_SK_SN_SO_EEENS7_IJSM_SN_SO_S12_NSH_IJLi7ELi8EEEEEEENSH_IJLi5ELi6ELi7ELi8EEEElEENS_13TensorAdaptorINS7_IJNSW_ISC_Lb0EEES1K_NS_23Merge_v2_magic_divisionINS7_IJiiSB_SB_EEEEEEEENS7_IJSI_SJ_NSH_IJLi2ELi3ELi4ELi5EEEEEEENS7_IJNSH_IJLi2ELi4EEEENSH_IJLi3ELi5EEEENSH_IJLi6EEEEEEENSH_IJLi0ELi1EEEES1T_EELb1EEEvPKT0_S1Z_PT1_T2_T3_T4_T5_T6_T7_T8_
; %bb.0:
	s_load_dword s3, s[0:1], 0x38
	s_add_u32 s12, s0, 32
	s_load_dword s4, s[0:1], 0xec
	s_load_dword s5, s[0:1], 0xf8
	;; [unrolled: 1-line block ×3, first 2 shown]
	s_addc_u32 s13, s1, 0
	s_waitcnt lgkmcnt(0)
	s_ashr_i32 s7, s3, 31
	s_lshr_b32 s7, s7, 30
	s_add_i32 s3, s3, s7
	s_ashr_i32 s14, s3, 2
	s_mul_hi_u32 s3, s5, s2
	s_add_i32 s3, s2, s3
	s_lshr_b32 s16, s3, s6
	s_mul_i32 s3, s16, s4
	s_sub_i32 s15, s2, s3
	s_movk_i32 s2, 0x100
	v_cmp_gt_u32_e32 vcc, s2, v0
	s_and_saveexec_b64 s[2:3], vcc
	s_xor_b64 s[2:3], exec, s[2:3]
	s_cbranch_execnz .LBB1_3
; %bb.1:
	s_andn2_saveexec_b64 s[2:3], s[2:3]
	s_cbranch_execnz .LBB1_6
.LBB1_2:
	s_endpgm
.LBB1_3:
	s_load_dwordx2 s[4:5], s[0:1], 0x10
	s_load_dword s8, s[0:1], 0x98
	s_load_dwordx2 s[6:7], s[0:1], 0xc8
	v_lshrrev_b32_e32 v1, 2, v0
	v_and_b32_e32 v130, 15, v0
	v_and_b32_e32 v3, 0x80, v0
	;; [unrolled: 1-line block ×3, first 2 shown]
	v_bfe_u32 v2, v0, 4, 2
	v_or_b32_e32 v4, v131, v130
	v_lshlrev_b32_e32 v3, 1, v3
	s_waitcnt lgkmcnt(0)
	s_max_i32 s7, s14, 2
	v_lshl_or_b32 v3, v130, 4, v3
	v_mul_u32_u24_e32 v5, 0x1010, v2
	v_lshlrev_b32_e32 v4, 4, v4
	v_mul_u32_u24_e32 v2, 0x810, v2
	v_mov_b32_e32 v14, 0
	s_add_i32 s7, s7, -1
	v_add_u32_e32 v132, v3, v5
	v_add_u32_e32 v133, v4, v2
	v_mov_b32_e32 v15, v14
	v_mov_b32_e32 v16, v14
	;; [unrolled: 1-line block ×127, first 2 shown]
.LBB1_4:                                ; =>This Inner Loop Header: Depth=1
	s_waitcnt lgkmcnt(0)
	s_barrier
	ds_read_b128 v[134:137], v132
	ds_read_b128 v[138:141], v133 offset:16432
	ds_read_b128 v[142:145], v133 offset:16944
	;; [unrolled: 1-line block ×5, first 2 shown]
	s_waitcnt lgkmcnt(4)
	v_mfma_f32_16x16x32_f16 v[126:129], v[134:137], v[138:141], v[126:129]
	s_add_i32 s7, s7, -1
	s_cmp_lg_u32 s7, 0
	s_waitcnt lgkmcnt(3)
	v_mfma_f32_16x16x32_f16 v[122:125], v[134:137], v[142:145], v[122:125]
	s_waitcnt lgkmcnt(1)
	v_mfma_f32_16x16x32_f16 v[118:121], v[134:137], v[150:153], v[118:121]
	;; [unrolled: 2-line block ×3, first 2 shown]
	v_mfma_f32_16x16x32_f16 v[110:113], v[146:149], v[138:141], v[110:113]
	v_mfma_f32_16x16x32_f16 v[106:109], v[146:149], v[142:145], v[106:109]
	;; [unrolled: 1-line block ×4, first 2 shown]
	ds_read_b128 v[134:137], v132 offset:1024
	ds_read_b128 v[146:149], v132 offset:1536
	s_waitcnt lgkmcnt(1)
	v_mfma_f32_16x16x32_f16 v[94:97], v[134:137], v[138:141], v[94:97]
	v_mfma_f32_16x16x32_f16 v[90:93], v[134:137], v[142:145], v[90:93]
	;; [unrolled: 1-line block ×4, first 2 shown]
	s_waitcnt lgkmcnt(0)
	v_mfma_f32_16x16x32_f16 v[66:69], v[146:149], v[138:141], v[66:69]
	v_mfma_f32_16x16x32_f16 v[74:77], v[146:149], v[142:145], v[74:77]
	;; [unrolled: 1-line block ×4, first 2 shown]
	ds_read_b128 v[134:137], v132 offset:2048
	ds_read_b128 v[146:149], v132 offset:2560
	s_waitcnt lgkmcnt(1)
	v_mfma_f32_16x16x32_f16 v[62:65], v[134:137], v[138:141], v[62:65]
	v_mfma_f32_16x16x32_f16 v[58:61], v[134:137], v[142:145], v[58:61]
	;; [unrolled: 1-line block ×4, first 2 shown]
	s_waitcnt lgkmcnt(0)
	v_mfma_f32_16x16x32_f16 v[34:37], v[146:149], v[138:141], v[34:37]
	v_mfma_f32_16x16x32_f16 v[38:41], v[146:149], v[142:145], v[38:41]
	;; [unrolled: 1-line block ×4, first 2 shown]
	ds_read_b128 v[134:137], v132 offset:3072
	ds_read_b128 v[146:149], v132 offset:3584
	s_waitcnt lgkmcnt(0)
	s_barrier
	v_mfma_f32_16x16x32_f16 v[30:33], v[134:137], v[138:141], v[30:33]
	v_mfma_f32_16x16x32_f16 v[26:29], v[134:137], v[142:145], v[26:29]
	;; [unrolled: 1-line block ×8, first 2 shown]
	s_cbranch_scc1 .LBB1_4
; %bb.5:
	s_waitcnt lgkmcnt(0)
	s_barrier
	ds_read_b128 v[134:137], v132
	ds_read_b128 v[138:141], v133 offset:16432
	ds_read_b128 v[142:145], v133 offset:16944
	;; [unrolled: 1-line block ×3, first 2 shown]
	s_waitcnt lgkmcnt(1)
	v_mfma_f32_16x16x32_f16 v[146:149], v[134:137], v[142:145], v[122:125]
	s_nop 2
	ds_read_b128 v[122:125], v133 offset:17456
	v_and_b32_e32 v1, 12, v1
	s_lshl_b32 s6, s6, 1
	v_mfma_f32_16x16x32_f16 v[126:129], v[134:137], v[138:141], v[126:129]
	s_and_b32 s5, s5, 0xffff
	s_mov_b32 s7, 0x20000
	s_waitcnt lgkmcnt(0)
	v_mfma_f32_16x16x32_f16 v[118:121], v[134:137], v[122:125], v[118:121]
	v_mfma_f32_16x16x32_f16 v[114:117], v[134:137], v[150:153], v[114:117]
	ds_read_b128 v[134:137], v132 offset:512
	s_nop 5
	v_cvt_f16_f32_e32 v118, v118
	s_waitcnt lgkmcnt(0)
	v_mfma_f32_16x16x32_f16 v[110:113], v[134:137], v[138:141], v[110:113]
	v_cvt_f16_f32_e32 v114, v114
	v_mfma_f32_16x16x32_f16 v[106:109], v[134:137], v[142:145], v[106:109]
	v_mfma_f32_16x16x32_f16 v[102:105], v[134:137], v[122:125], v[102:105]
	;; [unrolled: 1-line block ×3, first 2 shown]
	ds_read_b128 v[134:137], v132 offset:1024
	s_waitcnt lgkmcnt(0)
	v_mfma_f32_16x16x32_f16 v[94:97], v[134:137], v[138:141], v[94:97]
	s_nop 4
	v_cvt_f16_f32_e32 v98, v98
	s_nop 1
	v_cvt_f16_f32_e32 v94, v94
	v_mfma_f32_16x16x32_f16 v[90:93], v[134:137], v[142:145], v[90:93]
	v_mfma_f32_16x16x32_f16 v[86:89], v[134:137], v[122:125], v[86:89]
	;; [unrolled: 1-line block ×3, first 2 shown]
	ds_read_b128 v[134:137], v132 offset:1536
	s_nop 4
	v_cvt_f16_f32_e32 v90, v90
	v_cvt_f16_f32_e32 v86, v86
	s_waitcnt lgkmcnt(0)
	v_mfma_f32_16x16x32_f16 v[66:69], v[134:137], v[138:141], v[66:69]
	v_cvt_f16_f32_e32 v82, v82
	s_nop 6
	v_cvt_f16_f32_e32 v66, v66
	v_mfma_f32_16x16x32_f16 v[74:77], v[134:137], v[142:145], v[74:77]
	v_mfma_f32_16x16x32_f16 v[78:81], v[134:137], v[122:125], v[78:81]
	;; [unrolled: 1-line block ×3, first 2 shown]
	ds_read_b128 v[134:137], v132 offset:2048
	s_waitcnt lgkmcnt(0)
	v_mfma_f32_16x16x32_f16 v[62:65], v[134:137], v[138:141], v[62:65]
	s_nop 4
	v_cvt_f16_f32_e32 v70, v70
	s_nop 1
	v_cvt_f16_f32_e32 v62, v62
	v_mfma_f32_16x16x32_f16 v[58:61], v[134:137], v[142:145], v[58:61]
	v_mfma_f32_16x16x32_f16 v[54:57], v[134:137], v[122:125], v[54:57]
	;; [unrolled: 1-line block ×3, first 2 shown]
	ds_read_b128 v[134:137], v132 offset:2560
	s_nop 4
	v_cvt_f16_f32_e32 v58, v58
	v_cvt_f16_f32_e32 v54, v54
	s_waitcnt lgkmcnt(0)
	v_mfma_f32_16x16x32_f16 v[34:37], v[134:137], v[138:141], v[34:37]
	v_cvt_f16_f32_e32 v50, v50
	s_nop 6
	v_cvt_f16_f32_e32 v34, v34
	v_mfma_f32_16x16x32_f16 v[38:41], v[134:137], v[142:145], v[38:41]
	v_mfma_f32_16x16x32_f16 v[42:45], v[134:137], v[122:125], v[42:45]
	;; [unrolled: 1-line block ×3, first 2 shown]
	ds_read_b128 v[134:137], v132 offset:3072
	s_nop 5
	v_cvt_f16_f32_e32 v42, v42
	v_cvt_f16_f32_e32 v38, v38
	s_waitcnt lgkmcnt(0)
	v_mfma_f32_16x16x32_f16 v[30:33], v[134:137], v[138:141], v[30:33]
	v_cvt_f16_f32_e32 v46, v46
	v_mfma_f32_16x16x32_f16 v[26:29], v[134:137], v[142:145], v[26:29]
	v_mfma_f32_16x16x32_f16 v[22:25], v[134:137], v[122:125], v[22:25]
	;; [unrolled: 1-line block ×3, first 2 shown]
	ds_read_b128 v[132:135], v132 offset:3584
	s_waitcnt lgkmcnt(0)
	s_barrier
	v_mfma_f32_16x16x32_f16 v[10:13], v[132:135], v[122:125], v[10:13]
	v_lshrrev_b32_e32 v122, 3, v0
	v_lshlrev_b32_e32 v0, 2, v0
	v_and_b32_e32 v124, 28, v0
	v_and_or_b32 v123, v122, 16, v1
	v_lshl_or_b32 v0, s15, 7, v124
	v_lshl_or_b32 v1, s16, 8, v122
	v_mad_u64_u32 v[0:1], s[10:11], v1, s8, v[0:1]
	v_lshlrev_b32_e32 v1, 6, v123
	v_cvt_f16_f32_e32 v123, v127
	v_lshl_or_b32 v1, v131, 1, v1
	v_lshl_add_u32 v1, v130, 1, v1
	v_cvt_f16_f32_e32 v125, v126
	ds_write_b16 v1, v123 offset:64
	v_cvt_f16_f32_e32 v123, v128
	s_lshl_b32 s8, s8, 5
	ds_write_b16 v1, v125
	v_cvt_f16_f32_e32 v26, v26
	ds_write_b16 v1, v123 offset:128
	v_cvt_f16_f32_e32 v123, v129
	v_cvt_f16_f32_e32 v22, v22
	;; [unrolled: 1-line block ×3, first 2 shown]
	v_mfma_f32_16x16x32_f16 v[14:17], v[132:135], v[150:153], v[14:17]
	ds_write_b16 v1, v123 offset:192
	v_lshlrev_b32_e32 v123, 1, v124
	v_lshl_or_b32 v122, v122, 6, v123
	s_waitcnt lgkmcnt(0)
	s_barrier
	ds_read_b64 v[124:125], v122
	v_lshlrev_b32_e32 v123, 1, v0
	s_nop 0
	v_cvt_f16_f32_e32 v14, v14
	v_cvt_f16_f32_e32 v10, v10
	v_mfma_f32_16x16x32_f16 v[6:9], v[132:135], v[142:145], v[6:9]
	s_waitcnt lgkmcnt(0)
	buffer_store_dwordx2 v[124:125], v123, s[4:7], 0 offen
	v_cvt_f16_f32_e32 v124, v146
	s_waitcnt lgkmcnt(0)
	s_barrier
	v_mfma_f32_16x16x32_f16 v[2:5], v[132:135], v[138:141], v[2:5]
	ds_write_b16 v1, v124
	v_cvt_f16_f32_e32 v124, v147
	v_cvt_f16_f32_e32 v6, v6
	ds_write_b16 v1, v124 offset:64
	v_cvt_f16_f32_e32 v124, v148
	ds_write_b16 v1, v124 offset:128
	v_cvt_f16_f32_e32 v124, v149
	ds_write_b16 v1, v124 offset:192
	s_waitcnt lgkmcnt(0)
	s_barrier
	ds_read_b64 v[124:125], v122
	s_waitcnt lgkmcnt(0)
	buffer_store_dwordx2 v[124:125], v123, s[4:7], 0 offen offset:64
	s_waitcnt lgkmcnt(0)
	s_barrier
	ds_write_b16 v1, v118
	v_cvt_f16_f32_e32 v118, v119
	ds_write_b16 v1, v118 offset:64
	v_cvt_f16_f32_e32 v118, v120
	ds_write_b16 v1, v118 offset:128
	;; [unrolled: 2-line block ×3, first 2 shown]
	s_waitcnt lgkmcnt(0)
	s_barrier
	ds_read_b64 v[118:119], v122
	s_waitcnt lgkmcnt(0)
	buffer_store_dwordx2 v[118:119], v123, s[4:7], 0 offen offset:128
	s_waitcnt lgkmcnt(0)
	s_barrier
	ds_write_b16 v1, v114
	v_cvt_f16_f32_e32 v114, v115
	v_add_u32_e32 v118, 0x60, v0
	v_add_u32_e32 v0, s8, v0
	ds_write_b16 v1, v114 offset:64
	v_cvt_f16_f32_e32 v114, v116
	v_lshlrev_b32_e32 v116, 1, v118
	ds_write_b16 v1, v114 offset:128
	v_cvt_f16_f32_e32 v114, v117
	ds_write_b16 v1, v114 offset:192
	s_waitcnt lgkmcnt(0)
	s_barrier
	ds_read_b64 v[114:115], v122
	s_waitcnt lgkmcnt(0)
	buffer_store_dwordx2 v[114:115], v116, s[4:7], 0 offen
	s_waitcnt lgkmcnt(0)
	s_barrier
	ds_write_b16 v1, v98
	v_cvt_f16_f32_e32 v98, v99
	ds_write_b16 v1, v98 offset:64
	v_cvt_f16_f32_e32 v98, v100
	v_add_lshl_u32 v100, v118, s8, 1
	ds_write_b16 v1, v98 offset:128
	v_cvt_f16_f32_e32 v98, v101
	v_subrev_u32_e32 v101, 64, v100
	ds_write_b16 v1, v98 offset:192
	s_waitcnt lgkmcnt(0)
	s_barrier
	ds_read_b64 v[98:99], v122
	s_waitcnt lgkmcnt(0)
	buffer_store_dwordx2 v[98:99], v100, s[4:7], 0 offen
	v_cvt_f16_f32_e32 v98, v102
	s_waitcnt lgkmcnt(0)
	s_barrier
	v_add_u32_e32 v100, 0xffffff80, v100
	ds_write_b16 v1, v98
	v_cvt_f16_f32_e32 v98, v103
	ds_write_b16 v1, v98 offset:64
	v_cvt_f16_f32_e32 v98, v104
	ds_write_b16 v1, v98 offset:128
	;; [unrolled: 2-line block ×3, first 2 shown]
	s_waitcnt lgkmcnt(0)
	s_barrier
	ds_read_b64 v[98:99], v122
	s_waitcnt lgkmcnt(0)
	buffer_store_dwordx2 v[98:99], v101, s[4:7], 0 offen
	v_cvt_f16_f32_e32 v98, v106
	s_waitcnt lgkmcnt(0)
	s_barrier
	ds_write_b16 v1, v98
	v_cvt_f16_f32_e32 v98, v107
	ds_write_b16 v1, v98 offset:64
	v_cvt_f16_f32_e32 v98, v108
	ds_write_b16 v1, v98 offset:128
	;; [unrolled: 2-line block ×3, first 2 shown]
	s_waitcnt lgkmcnt(0)
	s_barrier
	ds_read_b64 v[98:99], v122
	s_waitcnt lgkmcnt(0)
	buffer_store_dwordx2 v[98:99], v100, s[4:7], 0 offen
	v_cvt_f16_f32_e32 v98, v110
	s_waitcnt lgkmcnt(0)
	s_barrier
	v_lshlrev_b32_e32 v100, 1, v0
	ds_write_b16 v1, v98
	v_cvt_f16_f32_e32 v98, v111
	v_add_u32_e32 v0, s8, v0
	ds_write_b16 v1, v98 offset:64
	v_cvt_f16_f32_e32 v98, v112
	ds_write_b16 v1, v98 offset:128
	v_cvt_f16_f32_e32 v98, v113
	ds_write_b16 v1, v98 offset:192
	s_waitcnt lgkmcnt(0)
	s_barrier
	ds_read_b64 v[98:99], v122
	s_waitcnt lgkmcnt(0)
	buffer_store_dwordx2 v[98:99], v100, s[4:7], 0 offen
	s_waitcnt lgkmcnt(0)
	s_barrier
	ds_write_b16 v1, v94
	v_cvt_f16_f32_e32 v94, v95
	ds_write_b16 v1, v94 offset:64
	v_cvt_f16_f32_e32 v94, v96
	v_lshlrev_b32_e32 v96, 1, v0
	ds_write_b16 v1, v94 offset:128
	v_cvt_f16_f32_e32 v94, v97
	ds_write_b16 v1, v94 offset:192
	s_waitcnt lgkmcnt(0)
	s_barrier
	ds_read_b64 v[94:95], v122
	s_waitcnt lgkmcnt(0)
	buffer_store_dwordx2 v[94:95], v96, s[4:7], 0 offen
	s_waitcnt lgkmcnt(0)
	s_barrier
	ds_write_b16 v1, v90
	v_cvt_f16_f32_e32 v90, v91
	ds_write_b16 v1, v90 offset:64
	v_cvt_f16_f32_e32 v90, v92
	ds_write_b16 v1, v90 offset:128
	;; [unrolled: 2-line block ×3, first 2 shown]
	s_waitcnt lgkmcnt(0)
	s_barrier
	ds_read_b64 v[90:91], v122
	s_waitcnt lgkmcnt(0)
	buffer_store_dwordx2 v[90:91], v96, s[4:7], 0 offen offset:64
	s_waitcnt lgkmcnt(0)
	s_barrier
	ds_write_b16 v1, v86
	v_cvt_f16_f32_e32 v86, v87
	ds_write_b16 v1, v86 offset:64
	v_cvt_f16_f32_e32 v86, v88
	ds_write_b16 v1, v86 offset:128
	;; [unrolled: 2-line block ×3, first 2 shown]
	s_waitcnt lgkmcnt(0)
	s_barrier
	ds_read_b64 v[86:87], v122
	s_waitcnt lgkmcnt(0)
	buffer_store_dwordx2 v[86:87], v96, s[4:7], 0 offen offset:128
	s_waitcnt lgkmcnt(0)
	s_barrier
	ds_write_b16 v1, v82
	v_cvt_f16_f32_e32 v82, v83
	v_add_u32_e32 v86, 0x60, v0
	v_add_u32_e32 v0, s8, v0
	ds_write_b16 v1, v82 offset:64
	v_cvt_f16_f32_e32 v82, v84
	v_lshlrev_b32_e32 v84, 1, v86
	ds_write_b16 v1, v82 offset:128
	v_cvt_f16_f32_e32 v82, v85
	ds_write_b16 v1, v82 offset:192
	s_waitcnt lgkmcnt(0)
	s_barrier
	ds_read_b64 v[82:83], v122
	s_waitcnt lgkmcnt(0)
	buffer_store_dwordx2 v[82:83], v84, s[4:7], 0 offen
	s_waitcnt lgkmcnt(0)
	s_barrier
	ds_write_b16 v1, v70
	v_cvt_f16_f32_e32 v70, v71
	ds_write_b16 v1, v70 offset:64
	v_cvt_f16_f32_e32 v70, v72
	v_add_lshl_u32 v72, v86, s8, 1
	ds_write_b16 v1, v70 offset:128
	v_cvt_f16_f32_e32 v70, v73
	v_subrev_u32_e32 v73, 64, v72
	ds_write_b16 v1, v70 offset:192
	s_waitcnt lgkmcnt(0)
	s_barrier
	ds_read_b64 v[70:71], v122
	s_waitcnt lgkmcnt(0)
	buffer_store_dwordx2 v[70:71], v72, s[4:7], 0 offen
	v_cvt_f16_f32_e32 v70, v78
	s_waitcnt lgkmcnt(0)
	s_barrier
	v_add_u32_e32 v72, 0xffffff80, v72
	ds_write_b16 v1, v70
	v_cvt_f16_f32_e32 v70, v79
	ds_write_b16 v1, v70 offset:64
	v_cvt_f16_f32_e32 v70, v80
	ds_write_b16 v1, v70 offset:128
	;; [unrolled: 2-line block ×3, first 2 shown]
	s_waitcnt lgkmcnt(0)
	s_barrier
	ds_read_b64 v[70:71], v122
	s_waitcnt lgkmcnt(0)
	buffer_store_dwordx2 v[70:71], v73, s[4:7], 0 offen
	v_cvt_f16_f32_e32 v70, v74
	s_waitcnt lgkmcnt(0)
	s_barrier
	ds_write_b16 v1, v70
	v_cvt_f16_f32_e32 v70, v75
	ds_write_b16 v1, v70 offset:64
	v_cvt_f16_f32_e32 v70, v76
	ds_write_b16 v1, v70 offset:128
	;; [unrolled: 2-line block ×3, first 2 shown]
	s_waitcnt lgkmcnt(0)
	s_barrier
	ds_read_b64 v[70:71], v122
	s_waitcnt lgkmcnt(0)
	buffer_store_dwordx2 v[70:71], v72, s[4:7], 0 offen
	s_waitcnt lgkmcnt(0)
	s_barrier
	ds_write_b16 v1, v66
	v_cvt_f16_f32_e32 v66, v67
	ds_write_b16 v1, v66 offset:64
	v_cvt_f16_f32_e32 v66, v68
	v_lshlrev_b32_e32 v68, 1, v0
	v_add_u32_e32 v0, s8, v0
	ds_write_b16 v1, v66 offset:128
	v_cvt_f16_f32_e32 v66, v69
	ds_write_b16 v1, v66 offset:192
	s_waitcnt lgkmcnt(0)
	s_barrier
	ds_read_b64 v[66:67], v122
	s_waitcnt lgkmcnt(0)
	buffer_store_dwordx2 v[66:67], v68, s[4:7], 0 offen
	s_waitcnt lgkmcnt(0)
	s_barrier
	ds_write_b16 v1, v62
	v_cvt_f16_f32_e32 v62, v63
	ds_write_b16 v1, v62 offset:64
	v_cvt_f16_f32_e32 v62, v64
	v_lshlrev_b32_e32 v64, 1, v0
	ds_write_b16 v1, v62 offset:128
	v_cvt_f16_f32_e32 v62, v65
	ds_write_b16 v1, v62 offset:192
	s_waitcnt lgkmcnt(0)
	s_barrier
	ds_read_b64 v[62:63], v122
	s_waitcnt lgkmcnt(0)
	buffer_store_dwordx2 v[62:63], v64, s[4:7], 0 offen
	s_waitcnt lgkmcnt(0)
	s_barrier
	ds_write_b16 v1, v58
	v_cvt_f16_f32_e32 v58, v59
	ds_write_b16 v1, v58 offset:64
	v_cvt_f16_f32_e32 v58, v60
	ds_write_b16 v1, v58 offset:128
	;; [unrolled: 2-line block ×3, first 2 shown]
	s_waitcnt lgkmcnt(0)
	s_barrier
	ds_read_b64 v[58:59], v122
	s_waitcnt lgkmcnt(0)
	buffer_store_dwordx2 v[58:59], v64, s[4:7], 0 offen offset:64
	s_waitcnt lgkmcnt(0)
	s_barrier
	ds_write_b16 v1, v54
	v_cvt_f16_f32_e32 v54, v55
	ds_write_b16 v1, v54 offset:64
	v_cvt_f16_f32_e32 v54, v56
	ds_write_b16 v1, v54 offset:128
	;; [unrolled: 2-line block ×3, first 2 shown]
	s_waitcnt lgkmcnt(0)
	s_barrier
	ds_read_b64 v[54:55], v122
	s_waitcnt lgkmcnt(0)
	buffer_store_dwordx2 v[54:55], v64, s[4:7], 0 offen offset:128
	s_waitcnt lgkmcnt(0)
	s_barrier
	ds_write_b16 v1, v50
	v_cvt_f16_f32_e32 v50, v51
	v_add_u32_e32 v54, 0x60, v0
	v_add_u32_e32 v0, s8, v0
	ds_write_b16 v1, v50 offset:64
	v_cvt_f16_f32_e32 v50, v52
	v_lshlrev_b32_e32 v52, 1, v54
	ds_write_b16 v1, v50 offset:128
	v_cvt_f16_f32_e32 v50, v53
	ds_write_b16 v1, v50 offset:192
	s_waitcnt lgkmcnt(0)
	s_barrier
	ds_read_b64 v[50:51], v122
	s_waitcnt lgkmcnt(0)
	buffer_store_dwordx2 v[50:51], v52, s[4:7], 0 offen
	s_waitcnt lgkmcnt(0)
	s_barrier
	ds_write_b16 v1, v46
	v_cvt_f16_f32_e32 v46, v47
	ds_write_b16 v1, v46 offset:64
	v_cvt_f16_f32_e32 v46, v48
	v_add_lshl_u32 v48, v54, s8, 1
	ds_write_b16 v1, v46 offset:128
	v_cvt_f16_f32_e32 v46, v49
	ds_write_b16 v1, v46 offset:192
	s_waitcnt lgkmcnt(0)
	s_barrier
	ds_read_b64 v[46:47], v122
	s_waitcnt lgkmcnt(0)
	buffer_store_dwordx2 v[46:47], v48, s[4:7], 0 offen
	s_waitcnt lgkmcnt(0)
	s_barrier
	ds_write_b16 v1, v42
	v_cvt_f16_f32_e32 v42, v43
	ds_write_b16 v1, v42 offset:64
	v_cvt_f16_f32_e32 v42, v44
	v_subrev_u32_e32 v44, 64, v48
	ds_write_b16 v1, v42 offset:128
	v_cvt_f16_f32_e32 v42, v45
	ds_write_b16 v1, v42 offset:192
	s_waitcnt lgkmcnt(0)
	s_barrier
	ds_read_b64 v[42:43], v122
	s_waitcnt lgkmcnt(0)
	buffer_store_dwordx2 v[42:43], v44, s[4:7], 0 offen
	s_waitcnt lgkmcnt(0)
	s_barrier
	ds_write_b16 v1, v38
	v_cvt_f16_f32_e32 v38, v39
	ds_write_b16 v1, v38 offset:64
	v_cvt_f16_f32_e32 v38, v40
	v_add_u32_e32 v40, 0xffffff80, v48
	ds_write_b16 v1, v38 offset:128
	v_cvt_f16_f32_e32 v38, v41
	ds_write_b16 v1, v38 offset:192
	s_waitcnt lgkmcnt(0)
	s_barrier
	ds_read_b64 v[38:39], v122
	s_waitcnt lgkmcnt(0)
	buffer_store_dwordx2 v[38:39], v40, s[4:7], 0 offen
	s_waitcnt lgkmcnt(0)
	s_barrier
	ds_write_b16 v1, v34
	v_cvt_f16_f32_e32 v34, v35
	ds_write_b16 v1, v34 offset:64
	v_cvt_f16_f32_e32 v34, v36
	v_lshlrev_b32_e32 v36, 1, v0
	ds_write_b16 v1, v34 offset:128
	v_cvt_f16_f32_e32 v34, v37
	ds_write_b16 v1, v34 offset:192
	s_waitcnt lgkmcnt(0)
	s_barrier
	ds_read_b64 v[34:35], v122
	s_waitcnt lgkmcnt(0)
	buffer_store_dwordx2 v[34:35], v36, s[4:7], 0 offen
	v_add_u32_e32 v34, s8, v0
	v_cvt_f16_f32_e32 v0, v30
	s_waitcnt lgkmcnt(0)
	s_barrier
	ds_write_b16 v1, v0
	v_cvt_f16_f32_e32 v0, v31
	ds_write_b16 v1, v0 offset:64
	v_cvt_f16_f32_e32 v0, v32
	ds_write_b16 v1, v0 offset:128
	;; [unrolled: 2-line block ×3, first 2 shown]
	s_waitcnt lgkmcnt(0)
	s_barrier
	ds_read_b64 v[30:31], v122
	v_lshlrev_b32_e32 v0, 1, v34
	s_waitcnt lgkmcnt(0)
	buffer_store_dwordx2 v[30:31], v0, s[4:7], 0 offen
	s_waitcnt lgkmcnt(0)
	s_barrier
	ds_write_b16 v1, v26
	v_cvt_f16_f32_e32 v26, v27
	ds_write_b16 v1, v26 offset:64
	v_cvt_f16_f32_e32 v26, v28
	ds_write_b16 v1, v26 offset:128
	;; [unrolled: 2-line block ×3, first 2 shown]
	s_waitcnt lgkmcnt(0)
	s_barrier
	ds_read_b64 v[26:27], v122
	s_waitcnt lgkmcnt(0)
	buffer_store_dwordx2 v[26:27], v0, s[4:7], 0 offen offset:64
	s_waitcnt lgkmcnt(0)
	s_barrier
	ds_write_b16 v1, v22
	v_cvt_f16_f32_e32 v22, v23
	ds_write_b16 v1, v22 offset:64
	v_cvt_f16_f32_e32 v22, v24
	ds_write_b16 v1, v22 offset:128
	;; [unrolled: 2-line block ×3, first 2 shown]
	s_waitcnt lgkmcnt(0)
	s_barrier
	ds_read_b64 v[22:23], v122
	s_waitcnt lgkmcnt(0)
	buffer_store_dwordx2 v[22:23], v0, s[4:7], 0 offen offset:128
	s_waitcnt lgkmcnt(0)
	s_barrier
	ds_write_b16 v1, v18
	v_cvt_f16_f32_e32 v18, v19
	v_add_u32_e32 v0, 0x60, v34
	ds_write_b16 v1, v18 offset:64
	v_cvt_f16_f32_e32 v18, v20
	v_lshlrev_b32_e32 v20, 1, v0
	v_add_lshl_u32 v0, v0, s8, 1
	ds_write_b16 v1, v18 offset:128
	v_cvt_f16_f32_e32 v18, v21
	ds_write_b16 v1, v18 offset:192
	s_waitcnt lgkmcnt(0)
	s_barrier
	ds_read_b64 v[18:19], v122
	s_waitcnt lgkmcnt(0)
	buffer_store_dwordx2 v[18:19], v20, s[4:7], 0 offen
	s_waitcnt lgkmcnt(0)
	s_barrier
	ds_write_b16 v1, v14
	v_cvt_f16_f32_e32 v14, v15
	ds_write_b16 v1, v14 offset:64
	v_cvt_f16_f32_e32 v14, v16
	ds_write_b16 v1, v14 offset:128
	;; [unrolled: 2-line block ×3, first 2 shown]
	s_waitcnt lgkmcnt(0)
	s_barrier
	ds_read_b64 v[14:15], v122
	s_waitcnt lgkmcnt(0)
	buffer_store_dwordx2 v[14:15], v0, s[4:7], 0 offen
	s_waitcnt lgkmcnt(0)
	s_barrier
	ds_write_b16 v1, v10
	v_cvt_f16_f32_e32 v10, v11
	ds_write_b16 v1, v10 offset:64
	v_cvt_f16_f32_e32 v10, v12
	v_subrev_u32_e32 v12, 64, v0
	v_add_u32_e32 v0, 0xffffff80, v0
	ds_write_b16 v1, v10 offset:128
	v_cvt_f16_f32_e32 v10, v13
	ds_write_b16 v1, v10 offset:192
	s_waitcnt lgkmcnt(0)
	s_barrier
	ds_read_b64 v[10:11], v122
	s_waitcnt lgkmcnt(0)
	buffer_store_dwordx2 v[10:11], v12, s[4:7], 0 offen
	s_waitcnt lgkmcnt(0)
	s_barrier
	ds_write_b16 v1, v6
	v_cvt_f16_f32_e32 v6, v7
	ds_write_b16 v1, v6 offset:64
	v_cvt_f16_f32_e32 v6, v8
	ds_write_b16 v1, v6 offset:128
	;; [unrolled: 2-line block ×3, first 2 shown]
	s_waitcnt lgkmcnt(0)
	s_barrier
	ds_read_b64 v[6:7], v122
	s_waitcnt lgkmcnt(0)
	buffer_store_dwordx2 v[6:7], v0, s[4:7], 0 offen
	v_cvt_f16_f32_e32 v0, v2
	s_waitcnt lgkmcnt(0)
	s_barrier
	v_add_lshl_u32 v2, v34, s8, 1
	ds_write_b16 v1, v0
	v_cvt_f16_f32_e32 v0, v3
	ds_write_b16 v1, v0 offset:64
	v_cvt_f16_f32_e32 v0, v4
	ds_write_b16 v1, v0 offset:128
	;; [unrolled: 2-line block ×3, first 2 shown]
	s_waitcnt lgkmcnt(0)
	s_barrier
	ds_read_b64 v[0:1], v122
	s_waitcnt lgkmcnt(0)
	buffer_store_dwordx2 v[0:1], v2, s[4:7], 0 offen
                                        ; implicit-def: $vgpr0
	s_andn2_saveexec_b64 s[2:3], s[2:3]
	s_cbranch_execz .LBB1_2
.LBB1_6:
	s_load_dword s17, s[12:13], 0x8
	s_load_dwordx4 s[8:11], s[0:1], 0x0
	s_load_dword s2, s[12:13], 0x30
	v_and_b32_e32 v1, 0x1fc, v0
                                        ; kill: killed $sgpr12 killed $sgpr13
	s_lshl_b32 s12, s16, 8
	v_add_u32_e32 v2, 0xffffff00, v1
	v_and_b32_e32 v6, 3, v0
	v_add_u32_e32 v3, s12, v2
	v_lshlrev_b32_e32 v4, 3, v6
	s_waitcnt lgkmcnt(0)
	v_mul_lo_u32 v3, v3, s17
	v_add_u32_e32 v5, v3, v4
	s_load_dword s18, s[0:1], 0x60
	s_load_dword s4, s[0:1], 0x88
                                        ; kill: killed $sgpr0 killed $sgpr1
	s_lshl_b32 s2, s2, 1
	s_and_b32 s1, s9, 0xffff
	s_mov_b32 s3, 0x20000
	s_mov_b32 s0, s8
	v_lshlrev_b32_e32 v7, 1, v5
	v_add_u32_e32 v5, s17, v5
	buffer_load_dwordx4 v[8:11], v7, s[0:3], 0 offen
	v_lshlrev_b32_e32 v7, 1, v5
	v_add_u32_e32 v5, s17, v5
	v_add_u32_e32 v0, 0xffffff00, v0
	buffer_load_dwordx4 v[12:15], v7, s[0:3], 0 offen
	v_lshlrev_b32_e32 v7, 1, v5
	v_lshrrev_b32_e32 v0, 1, v0
	buffer_load_dwordx4 v[16:19], v7, s[0:3], 0 offen
	v_and_b32_e32 v7, 0x7ffffffe, v0
	v_lshl_add_u32 v0, s15, 7, v7
	s_waitcnt lgkmcnt(0)
	v_mul_lo_u32 v32, v0, s18
	v_add_u32_e32 v0, v32, v4
	v_add_lshl_u32 v5, v5, s17, 1
	s_lshl_b32 s6, s4, 1
	s_and_b32 s5, s11, 0xffff
	s_mov_b32 s4, s10
	s_mov_b32 s7, s3
	v_lshlrev_b32_e32 v4, 1, v0
	v_add_lshl_u32 v0, v0, s18, 1
	buffer_load_dwordx4 v[20:23], v5, s[0:3], 0 offen
	buffer_load_dwordx4 v[24:27], v4, s[4:7], 0 offen
	;; [unrolled: 1-line block ×3, first 2 shown]
	v_add_u32_e32 v1, s12, v1
	v_mul_u32_u24_e32 v4, 0x1010, v6
	v_lshlrev_b32_e32 v2, 4, v2
	v_add_u32_e32 v5, 0xffffff03, v1
	v_add_u32_e32 v34, 0xffffff02, v1
	;; [unrolled: 1-line block ×3, first 2 shown]
	s_movk_i32 s0, 0x1010
	v_add_u32_e32 v1, v2, v4
	v_mul_lo_u32 v4, s17, v5
	v_mul_lo_u32 v5, s17, v34
	;; [unrolled: 1-line block ×3, first 2 shown]
	s_movk_i32 s11, 0x810
	s_max_i32 s4, s14, 2
	v_mul_u32_u24_e32 v33, 0x810, v6
	v_mad_u32_u24 v36, v6, s0, v2
	v_lshl_add_u32 v2, v3, 1, 64
	v_lshl_add_u32 v3, v4, 1, 64
	;; [unrolled: 1-line block ×4, first 2 shown]
	v_lshlrev_b32_e32 v34, 4, v7
	v_add_u32_e32 v7, s18, v32
	v_lshlrev_b32_e32 v0, 4, v6
	s_add_i32 s9, s4, -1
	s_mov_b32 s4, s10
	s_mov_b32 s0, s8
	v_mad_u32_u24 v35, v6, s11, v34
	v_lshl_add_u32 v6, v32, 1, 64
	v_lshl_add_u32 v7, v7, 1, 64
	; sched_group_barrier mask(0x00000020) size(4) SyncID(0)
	; sched_group_barrier mask(0x00000020) size(4) SyncID(0)
	;; [unrolled: 1-line block ×3, first 2 shown]
	s_waitcnt vmcnt(5)
	ds_write_b128 v36, v[8:11]
	v_add_u32_e32 v8, v34, v33
	s_waitcnt vmcnt(4)
	ds_write_b128 v36, v[12:15] offset:16
	s_waitcnt vmcnt(3)
	ds_write_b128 v36, v[16:19] offset:32
	;; [unrolled: 2-line block ×5, first 2 shown]
.LBB1_7:                                ; =>This Inner Loop Header: Depth=1
	v_add_u32_e32 v9, v0, v3
	s_waitcnt lgkmcnt(0)
	s_barrier
	buffer_load_dwordx4 v[10:13], v9, s[0:3], 0 offen
	v_add_u32_e32 v9, v0, v4
	buffer_load_dwordx4 v[14:17], v9, s[0:3], 0 offen
	v_add_u32_e32 v9, v0, v5
	;; [unrolled: 2-line block ×5, first 2 shown]
	buffer_load_dwordx4 v[30:33], v9, s[4:7], 0 offen
	s_add_i32 s9, s9, -1
	v_add_u32_e32 v3, 64, v3
	v_add_u32_e32 v4, 64, v4
	s_cmp_lg_u32 s9, 0
	v_add_u32_e32 v5, 64, v5
	v_add_u32_e32 v2, 64, v2
	;; [unrolled: 1-line block ×4, first 2 shown]
	; sched_group_barrier mask(0x00000020) size(4) SyncID(0)
	; sched_group_barrier mask(0x00000020) size(4) SyncID(0)
	;; [unrolled: 1-line block ×3, first 2 shown]
	s_waitcnt lgkmcnt(0)
	s_barrier
	s_waitcnt vmcnt(5)
	ds_write_b128 v1, v[10:13] offset:48
	s_waitcnt vmcnt(4)
	ds_write_b128 v1, v[14:17] offset:32
	s_waitcnt vmcnt(3)
	ds_write_b128 v1, v[18:21] offset:16
	s_waitcnt vmcnt(2)
	ds_write_b128 v1, v[22:25]
	s_waitcnt vmcnt(1)
	ds_write_b128 v8, v[26:29] offset:16448
	s_waitcnt vmcnt(0)
	ds_write_b128 v8, v[30:33] offset:16432
	s_cbranch_scc1 .LBB1_7
; %bb.8:
	s_waitcnt lgkmcnt(0)
	s_barrier
	s_waitcnt lgkmcnt(0)
	s_barrier
	;; [unrolled: 2-line block ×3, first 2 shown]
	s_endpgm
	.section	.rodata,"a",@progbits
	.p2align	6, 0x0
	.amdhsa_kernel _ZN2ck37kernel_gemm_xdl_waveletmodel_cshuffleINS_53GridwiseGemm_k0mk1_k0nk1_mn_xdl_waveletmodel_cshuffleIDF16_fDF16_DF16_NS_16tensor_operation12element_wise11PassThroughES4_S4_LNS_25InMemoryDataOperationEnumE0ENS_16TensorDescriptorINS_5TupleIJNS_5EmbedINS7_IJiiEEENS7_IJiNS_17integral_constantIiLi1EEEEEELb0EEENS_11PassThroughIiEESF_EEENS7_IJNS_8SequenceIJLi0EEEENSH_IJLi1EEEENSH_IJLi2EEEEEEENS7_IJNSH_IJLi1ELi2EEEENSH_IJLi3EEEENSH_IJLi4EEEEEEENSH_IJLi3ELi4EEEElEESR_SR_Li1ELi256ELi256ELi256ELi128ELi32ELi8ELi8ELi16ELi16ELi8ELi4ENSH_IJLi4ELi64ELi1EEEENSH_IJLi1ELi0ELi2EEEEST_Li2ELi8ELi8ELb0ELi1ESS_ST_ST_Li2ELi8ELi8ELb0ELi1ELi1ELi1ENSH_IJLi1ELi32ELi1ELi8EEEELi4EEEDF16_DF16_S4_S4_S4_NS6_INS7_IJSD_SF_SF_NS_7UnMergeINS7_IJiNSA_IiLi8EEEEEELb0EEESF_EEENS7_IJSI_SJ_SK_SO_SN_EEENS7_IJSM_SN_SO_NSH_IJLi5ELi6EEEENSH_IJLi7EEEEEEENSH_IJLi5ELi7ELi6EEEElEES16_NS6_INS7_IJSD_SF_SF_NSW_INS7_IJiNSA_IiLi256EEEEEELb0EEENSW_INS7_IJiNSA_IiLi128EEEEEELb0EEEEEENS7_IJSI_SJ_SK_SN_SO_EEENS7_IJSM_SN_SO_S12_NSH_IJLi7ELi8EEEEEEENSH_IJLi5ELi6ELi7ELi8EEEElEENS_13TensorAdaptorINS7_IJNSW_ISC_Lb0EEES1K_NS_23Merge_v2_magic_divisionINS7_IJiiSB_SB_EEEEEEEENS7_IJSI_SJ_NSH_IJLi2ELi3ELi4ELi5EEEEEEENS7_IJNSH_IJLi2ELi4EEEENSH_IJLi3ELi5EEEENSH_IJLi6EEEEEEENSH_IJLi0ELi1EEEES1T_EELb1EEEvPKT0_S1Z_PT1_T2_T3_T4_T5_T6_T7_T8_
		.amdhsa_group_segment_fixed_size 24672
		.amdhsa_private_segment_fixed_size 0
		.amdhsa_kernarg_size 276
		.amdhsa_user_sgpr_count 2
		.amdhsa_user_sgpr_dispatch_ptr 0
		.amdhsa_user_sgpr_queue_ptr 0
		.amdhsa_user_sgpr_kernarg_segment_ptr 1
		.amdhsa_user_sgpr_dispatch_id 0
		.amdhsa_user_sgpr_kernarg_preload_length 0
		.amdhsa_user_sgpr_kernarg_preload_offset 0
		.amdhsa_user_sgpr_private_segment_size 0
		.amdhsa_uses_dynamic_stack 0
		.amdhsa_enable_private_segment 0
		.amdhsa_system_sgpr_workgroup_id_x 1
		.amdhsa_system_sgpr_workgroup_id_y 0
		.amdhsa_system_sgpr_workgroup_id_z 0
		.amdhsa_system_sgpr_workgroup_info 0
		.amdhsa_system_vgpr_workitem_id 0
		.amdhsa_next_free_vgpr 158
		.amdhsa_next_free_sgpr 19
		.amdhsa_accum_offset 160
		.amdhsa_reserve_vcc 1
		.amdhsa_float_round_mode_32 0
		.amdhsa_float_round_mode_16_64 0
		.amdhsa_float_denorm_mode_32 3
		.amdhsa_float_denorm_mode_16_64 3
		.amdhsa_dx10_clamp 1
		.amdhsa_ieee_mode 1
		.amdhsa_fp16_overflow 0
		.amdhsa_tg_split 0
		.amdhsa_exception_fp_ieee_invalid_op 0
		.amdhsa_exception_fp_denorm_src 0
		.amdhsa_exception_fp_ieee_div_zero 0
		.amdhsa_exception_fp_ieee_overflow 0
		.amdhsa_exception_fp_ieee_underflow 0
		.amdhsa_exception_fp_ieee_inexact 0
		.amdhsa_exception_int_div_zero 0
	.end_amdhsa_kernel
	.section	.text._ZN2ck37kernel_gemm_xdl_waveletmodel_cshuffleINS_53GridwiseGemm_k0mk1_k0nk1_mn_xdl_waveletmodel_cshuffleIDF16_fDF16_DF16_NS_16tensor_operation12element_wise11PassThroughES4_S4_LNS_25InMemoryDataOperationEnumE0ENS_16TensorDescriptorINS_5TupleIJNS_5EmbedINS7_IJiiEEENS7_IJiNS_17integral_constantIiLi1EEEEEELb0EEENS_11PassThroughIiEESF_EEENS7_IJNS_8SequenceIJLi0EEEENSH_IJLi1EEEENSH_IJLi2EEEEEEENS7_IJNSH_IJLi1ELi2EEEENSH_IJLi3EEEENSH_IJLi4EEEEEEENSH_IJLi3ELi4EEEElEESR_SR_Li1ELi256ELi256ELi256ELi128ELi32ELi8ELi8ELi16ELi16ELi8ELi4ENSH_IJLi4ELi64ELi1EEEENSH_IJLi1ELi0ELi2EEEEST_Li2ELi8ELi8ELb0ELi1ESS_ST_ST_Li2ELi8ELi8ELb0ELi1ELi1ELi1ENSH_IJLi1ELi32ELi1ELi8EEEELi4EEEDF16_DF16_S4_S4_S4_NS6_INS7_IJSD_SF_SF_NS_7UnMergeINS7_IJiNSA_IiLi8EEEEEELb0EEESF_EEENS7_IJSI_SJ_SK_SO_SN_EEENS7_IJSM_SN_SO_NSH_IJLi5ELi6EEEENSH_IJLi7EEEEEEENSH_IJLi5ELi7ELi6EEEElEES16_NS6_INS7_IJSD_SF_SF_NSW_INS7_IJiNSA_IiLi256EEEEEELb0EEENSW_INS7_IJiNSA_IiLi128EEEEEELb0EEEEEENS7_IJSI_SJ_SK_SN_SO_EEENS7_IJSM_SN_SO_S12_NSH_IJLi7ELi8EEEEEEENSH_IJLi5ELi6ELi7ELi8EEEElEENS_13TensorAdaptorINS7_IJNSW_ISC_Lb0EEES1K_NS_23Merge_v2_magic_divisionINS7_IJiiSB_SB_EEEEEEEENS7_IJSI_SJ_NSH_IJLi2ELi3ELi4ELi5EEEEEEENS7_IJNSH_IJLi2ELi4EEEENSH_IJLi3ELi5EEEENSH_IJLi6EEEEEEENSH_IJLi0ELi1EEEES1T_EELb1EEEvPKT0_S1Z_PT1_T2_T3_T4_T5_T6_T7_T8_,"axG",@progbits,_ZN2ck37kernel_gemm_xdl_waveletmodel_cshuffleINS_53GridwiseGemm_k0mk1_k0nk1_mn_xdl_waveletmodel_cshuffleIDF16_fDF16_DF16_NS_16tensor_operation12element_wise11PassThroughES4_S4_LNS_25InMemoryDataOperationEnumE0ENS_16TensorDescriptorINS_5TupleIJNS_5EmbedINS7_IJiiEEENS7_IJiNS_17integral_constantIiLi1EEEEEELb0EEENS_11PassThroughIiEESF_EEENS7_IJNS_8SequenceIJLi0EEEENSH_IJLi1EEEENSH_IJLi2EEEEEEENS7_IJNSH_IJLi1ELi2EEEENSH_IJLi3EEEENSH_IJLi4EEEEEEENSH_IJLi3ELi4EEEElEESR_SR_Li1ELi256ELi256ELi256ELi128ELi32ELi8ELi8ELi16ELi16ELi8ELi4ENSH_IJLi4ELi64ELi1EEEENSH_IJLi1ELi0ELi2EEEEST_Li2ELi8ELi8ELb0ELi1ESS_ST_ST_Li2ELi8ELi8ELb0ELi1ELi1ELi1ENSH_IJLi1ELi32ELi1ELi8EEEELi4EEEDF16_DF16_S4_S4_S4_NS6_INS7_IJSD_SF_SF_NS_7UnMergeINS7_IJiNSA_IiLi8EEEEEELb0EEESF_EEENS7_IJSI_SJ_SK_SO_SN_EEENS7_IJSM_SN_SO_NSH_IJLi5ELi6EEEENSH_IJLi7EEEEEEENSH_IJLi5ELi7ELi6EEEElEES16_NS6_INS7_IJSD_SF_SF_NSW_INS7_IJiNSA_IiLi256EEEEEELb0EEENSW_INS7_IJiNSA_IiLi128EEEEEELb0EEEEEENS7_IJSI_SJ_SK_SN_SO_EEENS7_IJSM_SN_SO_S12_NSH_IJLi7ELi8EEEEEEENSH_IJLi5ELi6ELi7ELi8EEEElEENS_13TensorAdaptorINS7_IJNSW_ISC_Lb0EEES1K_NS_23Merge_v2_magic_divisionINS7_IJiiSB_SB_EEEEEEEENS7_IJSI_SJ_NSH_IJLi2ELi3ELi4ELi5EEEEEEENS7_IJNSH_IJLi2ELi4EEEENSH_IJLi3ELi5EEEENSH_IJLi6EEEEEEENSH_IJLi0ELi1EEEES1T_EELb1EEEvPKT0_S1Z_PT1_T2_T3_T4_T5_T6_T7_T8_,comdat
.Lfunc_end1:
	.size	_ZN2ck37kernel_gemm_xdl_waveletmodel_cshuffleINS_53GridwiseGemm_k0mk1_k0nk1_mn_xdl_waveletmodel_cshuffleIDF16_fDF16_DF16_NS_16tensor_operation12element_wise11PassThroughES4_S4_LNS_25InMemoryDataOperationEnumE0ENS_16TensorDescriptorINS_5TupleIJNS_5EmbedINS7_IJiiEEENS7_IJiNS_17integral_constantIiLi1EEEEEELb0EEENS_11PassThroughIiEESF_EEENS7_IJNS_8SequenceIJLi0EEEENSH_IJLi1EEEENSH_IJLi2EEEEEEENS7_IJNSH_IJLi1ELi2EEEENSH_IJLi3EEEENSH_IJLi4EEEEEEENSH_IJLi3ELi4EEEElEESR_SR_Li1ELi256ELi256ELi256ELi128ELi32ELi8ELi8ELi16ELi16ELi8ELi4ENSH_IJLi4ELi64ELi1EEEENSH_IJLi1ELi0ELi2EEEEST_Li2ELi8ELi8ELb0ELi1ESS_ST_ST_Li2ELi8ELi8ELb0ELi1ELi1ELi1ENSH_IJLi1ELi32ELi1ELi8EEEELi4EEEDF16_DF16_S4_S4_S4_NS6_INS7_IJSD_SF_SF_NS_7UnMergeINS7_IJiNSA_IiLi8EEEEEELb0EEESF_EEENS7_IJSI_SJ_SK_SO_SN_EEENS7_IJSM_SN_SO_NSH_IJLi5ELi6EEEENSH_IJLi7EEEEEEENSH_IJLi5ELi7ELi6EEEElEES16_NS6_INS7_IJSD_SF_SF_NSW_INS7_IJiNSA_IiLi256EEEEEELb0EEENSW_INS7_IJiNSA_IiLi128EEEEEELb0EEEEEENS7_IJSI_SJ_SK_SN_SO_EEENS7_IJSM_SN_SO_S12_NSH_IJLi7ELi8EEEEEEENSH_IJLi5ELi6ELi7ELi8EEEElEENS_13TensorAdaptorINS7_IJNSW_ISC_Lb0EEES1K_NS_23Merge_v2_magic_divisionINS7_IJiiSB_SB_EEEEEEEENS7_IJSI_SJ_NSH_IJLi2ELi3ELi4ELi5EEEEEEENS7_IJNSH_IJLi2ELi4EEEENSH_IJLi3ELi5EEEENSH_IJLi6EEEEEEENSH_IJLi0ELi1EEEES1T_EELb1EEEvPKT0_S1Z_PT1_T2_T3_T4_T5_T6_T7_T8_, .Lfunc_end1-_ZN2ck37kernel_gemm_xdl_waveletmodel_cshuffleINS_53GridwiseGemm_k0mk1_k0nk1_mn_xdl_waveletmodel_cshuffleIDF16_fDF16_DF16_NS_16tensor_operation12element_wise11PassThroughES4_S4_LNS_25InMemoryDataOperationEnumE0ENS_16TensorDescriptorINS_5TupleIJNS_5EmbedINS7_IJiiEEENS7_IJiNS_17integral_constantIiLi1EEEEEELb0EEENS_11PassThroughIiEESF_EEENS7_IJNS_8SequenceIJLi0EEEENSH_IJLi1EEEENSH_IJLi2EEEEEEENS7_IJNSH_IJLi1ELi2EEEENSH_IJLi3EEEENSH_IJLi4EEEEEEENSH_IJLi3ELi4EEEElEESR_SR_Li1ELi256ELi256ELi256ELi128ELi32ELi8ELi8ELi16ELi16ELi8ELi4ENSH_IJLi4ELi64ELi1EEEENSH_IJLi1ELi0ELi2EEEEST_Li2ELi8ELi8ELb0ELi1ESS_ST_ST_Li2ELi8ELi8ELb0ELi1ELi1ELi1ENSH_IJLi1ELi32ELi1ELi8EEEELi4EEEDF16_DF16_S4_S4_S4_NS6_INS7_IJSD_SF_SF_NS_7UnMergeINS7_IJiNSA_IiLi8EEEEEELb0EEESF_EEENS7_IJSI_SJ_SK_SO_SN_EEENS7_IJSM_SN_SO_NSH_IJLi5ELi6EEEENSH_IJLi7EEEEEEENSH_IJLi5ELi7ELi6EEEElEES16_NS6_INS7_IJSD_SF_SF_NSW_INS7_IJiNSA_IiLi256EEEEEELb0EEENSW_INS7_IJiNSA_IiLi128EEEEEELb0EEEEEENS7_IJSI_SJ_SK_SN_SO_EEENS7_IJSM_SN_SO_S12_NSH_IJLi7ELi8EEEEEEENSH_IJLi5ELi6ELi7ELi8EEEElEENS_13TensorAdaptorINS7_IJNSW_ISC_Lb0EEES1K_NS_23Merge_v2_magic_divisionINS7_IJiiSB_SB_EEEEEEEENS7_IJSI_SJ_NSH_IJLi2ELi3ELi4ELi5EEEEEEENS7_IJNSH_IJLi2ELi4EEEENSH_IJLi3ELi5EEEENSH_IJLi6EEEEEEENSH_IJLi0ELi1EEEES1T_EELb1EEEvPKT0_S1Z_PT1_T2_T3_T4_T5_T6_T7_T8_
                                        ; -- End function
	.set _ZN2ck37kernel_gemm_xdl_waveletmodel_cshuffleINS_53GridwiseGemm_k0mk1_k0nk1_mn_xdl_waveletmodel_cshuffleIDF16_fDF16_DF16_NS_16tensor_operation12element_wise11PassThroughES4_S4_LNS_25InMemoryDataOperationEnumE0ENS_16TensorDescriptorINS_5TupleIJNS_5EmbedINS7_IJiiEEENS7_IJiNS_17integral_constantIiLi1EEEEEELb0EEENS_11PassThroughIiEESF_EEENS7_IJNS_8SequenceIJLi0EEEENSH_IJLi1EEEENSH_IJLi2EEEEEEENS7_IJNSH_IJLi1ELi2EEEENSH_IJLi3EEEENSH_IJLi4EEEEEEENSH_IJLi3ELi4EEEElEESR_SR_Li1ELi256ELi256ELi256ELi128ELi32ELi8ELi8ELi16ELi16ELi8ELi4ENSH_IJLi4ELi64ELi1EEEENSH_IJLi1ELi0ELi2EEEEST_Li2ELi8ELi8ELb0ELi1ESS_ST_ST_Li2ELi8ELi8ELb0ELi1ELi1ELi1ENSH_IJLi1ELi32ELi1ELi8EEEELi4EEEDF16_DF16_S4_S4_S4_NS6_INS7_IJSD_SF_SF_NS_7UnMergeINS7_IJiNSA_IiLi8EEEEEELb0EEESF_EEENS7_IJSI_SJ_SK_SO_SN_EEENS7_IJSM_SN_SO_NSH_IJLi5ELi6EEEENSH_IJLi7EEEEEEENSH_IJLi5ELi7ELi6EEEElEES16_NS6_INS7_IJSD_SF_SF_NSW_INS7_IJiNSA_IiLi256EEEEEELb0EEENSW_INS7_IJiNSA_IiLi128EEEEEELb0EEEEEENS7_IJSI_SJ_SK_SN_SO_EEENS7_IJSM_SN_SO_S12_NSH_IJLi7ELi8EEEEEEENSH_IJLi5ELi6ELi7ELi8EEEElEENS_13TensorAdaptorINS7_IJNSW_ISC_Lb0EEES1K_NS_23Merge_v2_magic_divisionINS7_IJiiSB_SB_EEEEEEEENS7_IJSI_SJ_NSH_IJLi2ELi3ELi4ELi5EEEEEEENS7_IJNSH_IJLi2ELi4EEEENSH_IJLi3ELi5EEEENSH_IJLi6EEEEEEENSH_IJLi0ELi1EEEES1T_EELb1EEEvPKT0_S1Z_PT1_T2_T3_T4_T5_T6_T7_T8_.num_vgpr, 158
	.set _ZN2ck37kernel_gemm_xdl_waveletmodel_cshuffleINS_53GridwiseGemm_k0mk1_k0nk1_mn_xdl_waveletmodel_cshuffleIDF16_fDF16_DF16_NS_16tensor_operation12element_wise11PassThroughES4_S4_LNS_25InMemoryDataOperationEnumE0ENS_16TensorDescriptorINS_5TupleIJNS_5EmbedINS7_IJiiEEENS7_IJiNS_17integral_constantIiLi1EEEEEELb0EEENS_11PassThroughIiEESF_EEENS7_IJNS_8SequenceIJLi0EEEENSH_IJLi1EEEENSH_IJLi2EEEEEEENS7_IJNSH_IJLi1ELi2EEEENSH_IJLi3EEEENSH_IJLi4EEEEEEENSH_IJLi3ELi4EEEElEESR_SR_Li1ELi256ELi256ELi256ELi128ELi32ELi8ELi8ELi16ELi16ELi8ELi4ENSH_IJLi4ELi64ELi1EEEENSH_IJLi1ELi0ELi2EEEEST_Li2ELi8ELi8ELb0ELi1ESS_ST_ST_Li2ELi8ELi8ELb0ELi1ELi1ELi1ENSH_IJLi1ELi32ELi1ELi8EEEELi4EEEDF16_DF16_S4_S4_S4_NS6_INS7_IJSD_SF_SF_NS_7UnMergeINS7_IJiNSA_IiLi8EEEEEELb0EEESF_EEENS7_IJSI_SJ_SK_SO_SN_EEENS7_IJSM_SN_SO_NSH_IJLi5ELi6EEEENSH_IJLi7EEEEEEENSH_IJLi5ELi7ELi6EEEElEES16_NS6_INS7_IJSD_SF_SF_NSW_INS7_IJiNSA_IiLi256EEEEEELb0EEENSW_INS7_IJiNSA_IiLi128EEEEEELb0EEEEEENS7_IJSI_SJ_SK_SN_SO_EEENS7_IJSM_SN_SO_S12_NSH_IJLi7ELi8EEEEEEENSH_IJLi5ELi6ELi7ELi8EEEElEENS_13TensorAdaptorINS7_IJNSW_ISC_Lb0EEES1K_NS_23Merge_v2_magic_divisionINS7_IJiiSB_SB_EEEEEEEENS7_IJSI_SJ_NSH_IJLi2ELi3ELi4ELi5EEEEEEENS7_IJNSH_IJLi2ELi4EEEENSH_IJLi3ELi5EEEENSH_IJLi6EEEEEEENSH_IJLi0ELi1EEEES1T_EELb1EEEvPKT0_S1Z_PT1_T2_T3_T4_T5_T6_T7_T8_.num_agpr, 0
	.set _ZN2ck37kernel_gemm_xdl_waveletmodel_cshuffleINS_53GridwiseGemm_k0mk1_k0nk1_mn_xdl_waveletmodel_cshuffleIDF16_fDF16_DF16_NS_16tensor_operation12element_wise11PassThroughES4_S4_LNS_25InMemoryDataOperationEnumE0ENS_16TensorDescriptorINS_5TupleIJNS_5EmbedINS7_IJiiEEENS7_IJiNS_17integral_constantIiLi1EEEEEELb0EEENS_11PassThroughIiEESF_EEENS7_IJNS_8SequenceIJLi0EEEENSH_IJLi1EEEENSH_IJLi2EEEEEEENS7_IJNSH_IJLi1ELi2EEEENSH_IJLi3EEEENSH_IJLi4EEEEEEENSH_IJLi3ELi4EEEElEESR_SR_Li1ELi256ELi256ELi256ELi128ELi32ELi8ELi8ELi16ELi16ELi8ELi4ENSH_IJLi4ELi64ELi1EEEENSH_IJLi1ELi0ELi2EEEEST_Li2ELi8ELi8ELb0ELi1ESS_ST_ST_Li2ELi8ELi8ELb0ELi1ELi1ELi1ENSH_IJLi1ELi32ELi1ELi8EEEELi4EEEDF16_DF16_S4_S4_S4_NS6_INS7_IJSD_SF_SF_NS_7UnMergeINS7_IJiNSA_IiLi8EEEEEELb0EEESF_EEENS7_IJSI_SJ_SK_SO_SN_EEENS7_IJSM_SN_SO_NSH_IJLi5ELi6EEEENSH_IJLi7EEEEEEENSH_IJLi5ELi7ELi6EEEElEES16_NS6_INS7_IJSD_SF_SF_NSW_INS7_IJiNSA_IiLi256EEEEEELb0EEENSW_INS7_IJiNSA_IiLi128EEEEEELb0EEEEEENS7_IJSI_SJ_SK_SN_SO_EEENS7_IJSM_SN_SO_S12_NSH_IJLi7ELi8EEEEEEENSH_IJLi5ELi6ELi7ELi8EEEElEENS_13TensorAdaptorINS7_IJNSW_ISC_Lb0EEES1K_NS_23Merge_v2_magic_divisionINS7_IJiiSB_SB_EEEEEEEENS7_IJSI_SJ_NSH_IJLi2ELi3ELi4ELi5EEEEEEENS7_IJNSH_IJLi2ELi4EEEENSH_IJLi3ELi5EEEENSH_IJLi6EEEEEEENSH_IJLi0ELi1EEEES1T_EELb1EEEvPKT0_S1Z_PT1_T2_T3_T4_T5_T6_T7_T8_.numbered_sgpr, 19
	.set _ZN2ck37kernel_gemm_xdl_waveletmodel_cshuffleINS_53GridwiseGemm_k0mk1_k0nk1_mn_xdl_waveletmodel_cshuffleIDF16_fDF16_DF16_NS_16tensor_operation12element_wise11PassThroughES4_S4_LNS_25InMemoryDataOperationEnumE0ENS_16TensorDescriptorINS_5TupleIJNS_5EmbedINS7_IJiiEEENS7_IJiNS_17integral_constantIiLi1EEEEEELb0EEENS_11PassThroughIiEESF_EEENS7_IJNS_8SequenceIJLi0EEEENSH_IJLi1EEEENSH_IJLi2EEEEEEENS7_IJNSH_IJLi1ELi2EEEENSH_IJLi3EEEENSH_IJLi4EEEEEEENSH_IJLi3ELi4EEEElEESR_SR_Li1ELi256ELi256ELi256ELi128ELi32ELi8ELi8ELi16ELi16ELi8ELi4ENSH_IJLi4ELi64ELi1EEEENSH_IJLi1ELi0ELi2EEEEST_Li2ELi8ELi8ELb0ELi1ESS_ST_ST_Li2ELi8ELi8ELb0ELi1ELi1ELi1ENSH_IJLi1ELi32ELi1ELi8EEEELi4EEEDF16_DF16_S4_S4_S4_NS6_INS7_IJSD_SF_SF_NS_7UnMergeINS7_IJiNSA_IiLi8EEEEEELb0EEESF_EEENS7_IJSI_SJ_SK_SO_SN_EEENS7_IJSM_SN_SO_NSH_IJLi5ELi6EEEENSH_IJLi7EEEEEEENSH_IJLi5ELi7ELi6EEEElEES16_NS6_INS7_IJSD_SF_SF_NSW_INS7_IJiNSA_IiLi256EEEEEELb0EEENSW_INS7_IJiNSA_IiLi128EEEEEELb0EEEEEENS7_IJSI_SJ_SK_SN_SO_EEENS7_IJSM_SN_SO_S12_NSH_IJLi7ELi8EEEEEEENSH_IJLi5ELi6ELi7ELi8EEEElEENS_13TensorAdaptorINS7_IJNSW_ISC_Lb0EEES1K_NS_23Merge_v2_magic_divisionINS7_IJiiSB_SB_EEEEEEEENS7_IJSI_SJ_NSH_IJLi2ELi3ELi4ELi5EEEEEEENS7_IJNSH_IJLi2ELi4EEEENSH_IJLi3ELi5EEEENSH_IJLi6EEEEEEENSH_IJLi0ELi1EEEES1T_EELb1EEEvPKT0_S1Z_PT1_T2_T3_T4_T5_T6_T7_T8_.num_named_barrier, 0
	.set _ZN2ck37kernel_gemm_xdl_waveletmodel_cshuffleINS_53GridwiseGemm_k0mk1_k0nk1_mn_xdl_waveletmodel_cshuffleIDF16_fDF16_DF16_NS_16tensor_operation12element_wise11PassThroughES4_S4_LNS_25InMemoryDataOperationEnumE0ENS_16TensorDescriptorINS_5TupleIJNS_5EmbedINS7_IJiiEEENS7_IJiNS_17integral_constantIiLi1EEEEEELb0EEENS_11PassThroughIiEESF_EEENS7_IJNS_8SequenceIJLi0EEEENSH_IJLi1EEEENSH_IJLi2EEEEEEENS7_IJNSH_IJLi1ELi2EEEENSH_IJLi3EEEENSH_IJLi4EEEEEEENSH_IJLi3ELi4EEEElEESR_SR_Li1ELi256ELi256ELi256ELi128ELi32ELi8ELi8ELi16ELi16ELi8ELi4ENSH_IJLi4ELi64ELi1EEEENSH_IJLi1ELi0ELi2EEEEST_Li2ELi8ELi8ELb0ELi1ESS_ST_ST_Li2ELi8ELi8ELb0ELi1ELi1ELi1ENSH_IJLi1ELi32ELi1ELi8EEEELi4EEEDF16_DF16_S4_S4_S4_NS6_INS7_IJSD_SF_SF_NS_7UnMergeINS7_IJiNSA_IiLi8EEEEEELb0EEESF_EEENS7_IJSI_SJ_SK_SO_SN_EEENS7_IJSM_SN_SO_NSH_IJLi5ELi6EEEENSH_IJLi7EEEEEEENSH_IJLi5ELi7ELi6EEEElEES16_NS6_INS7_IJSD_SF_SF_NSW_INS7_IJiNSA_IiLi256EEEEEELb0EEENSW_INS7_IJiNSA_IiLi128EEEEEELb0EEEEEENS7_IJSI_SJ_SK_SN_SO_EEENS7_IJSM_SN_SO_S12_NSH_IJLi7ELi8EEEEEEENSH_IJLi5ELi6ELi7ELi8EEEElEENS_13TensorAdaptorINS7_IJNSW_ISC_Lb0EEES1K_NS_23Merge_v2_magic_divisionINS7_IJiiSB_SB_EEEEEEEENS7_IJSI_SJ_NSH_IJLi2ELi3ELi4ELi5EEEEEEENS7_IJNSH_IJLi2ELi4EEEENSH_IJLi3ELi5EEEENSH_IJLi6EEEEEEENSH_IJLi0ELi1EEEES1T_EELb1EEEvPKT0_S1Z_PT1_T2_T3_T4_T5_T6_T7_T8_.private_seg_size, 0
	.set _ZN2ck37kernel_gemm_xdl_waveletmodel_cshuffleINS_53GridwiseGemm_k0mk1_k0nk1_mn_xdl_waveletmodel_cshuffleIDF16_fDF16_DF16_NS_16tensor_operation12element_wise11PassThroughES4_S4_LNS_25InMemoryDataOperationEnumE0ENS_16TensorDescriptorINS_5TupleIJNS_5EmbedINS7_IJiiEEENS7_IJiNS_17integral_constantIiLi1EEEEEELb0EEENS_11PassThroughIiEESF_EEENS7_IJNS_8SequenceIJLi0EEEENSH_IJLi1EEEENSH_IJLi2EEEEEEENS7_IJNSH_IJLi1ELi2EEEENSH_IJLi3EEEENSH_IJLi4EEEEEEENSH_IJLi3ELi4EEEElEESR_SR_Li1ELi256ELi256ELi256ELi128ELi32ELi8ELi8ELi16ELi16ELi8ELi4ENSH_IJLi4ELi64ELi1EEEENSH_IJLi1ELi0ELi2EEEEST_Li2ELi8ELi8ELb0ELi1ESS_ST_ST_Li2ELi8ELi8ELb0ELi1ELi1ELi1ENSH_IJLi1ELi32ELi1ELi8EEEELi4EEEDF16_DF16_S4_S4_S4_NS6_INS7_IJSD_SF_SF_NS_7UnMergeINS7_IJiNSA_IiLi8EEEEEELb0EEESF_EEENS7_IJSI_SJ_SK_SO_SN_EEENS7_IJSM_SN_SO_NSH_IJLi5ELi6EEEENSH_IJLi7EEEEEEENSH_IJLi5ELi7ELi6EEEElEES16_NS6_INS7_IJSD_SF_SF_NSW_INS7_IJiNSA_IiLi256EEEEEELb0EEENSW_INS7_IJiNSA_IiLi128EEEEEELb0EEEEEENS7_IJSI_SJ_SK_SN_SO_EEENS7_IJSM_SN_SO_S12_NSH_IJLi7ELi8EEEEEEENSH_IJLi5ELi6ELi7ELi8EEEElEENS_13TensorAdaptorINS7_IJNSW_ISC_Lb0EEES1K_NS_23Merge_v2_magic_divisionINS7_IJiiSB_SB_EEEEEEEENS7_IJSI_SJ_NSH_IJLi2ELi3ELi4ELi5EEEEEEENS7_IJNSH_IJLi2ELi4EEEENSH_IJLi3ELi5EEEENSH_IJLi6EEEEEEENSH_IJLi0ELi1EEEES1T_EELb1EEEvPKT0_S1Z_PT1_T2_T3_T4_T5_T6_T7_T8_.uses_vcc, 1
	.set _ZN2ck37kernel_gemm_xdl_waveletmodel_cshuffleINS_53GridwiseGemm_k0mk1_k0nk1_mn_xdl_waveletmodel_cshuffleIDF16_fDF16_DF16_NS_16tensor_operation12element_wise11PassThroughES4_S4_LNS_25InMemoryDataOperationEnumE0ENS_16TensorDescriptorINS_5TupleIJNS_5EmbedINS7_IJiiEEENS7_IJiNS_17integral_constantIiLi1EEEEEELb0EEENS_11PassThroughIiEESF_EEENS7_IJNS_8SequenceIJLi0EEEENSH_IJLi1EEEENSH_IJLi2EEEEEEENS7_IJNSH_IJLi1ELi2EEEENSH_IJLi3EEEENSH_IJLi4EEEEEEENSH_IJLi3ELi4EEEElEESR_SR_Li1ELi256ELi256ELi256ELi128ELi32ELi8ELi8ELi16ELi16ELi8ELi4ENSH_IJLi4ELi64ELi1EEEENSH_IJLi1ELi0ELi2EEEEST_Li2ELi8ELi8ELb0ELi1ESS_ST_ST_Li2ELi8ELi8ELb0ELi1ELi1ELi1ENSH_IJLi1ELi32ELi1ELi8EEEELi4EEEDF16_DF16_S4_S4_S4_NS6_INS7_IJSD_SF_SF_NS_7UnMergeINS7_IJiNSA_IiLi8EEEEEELb0EEESF_EEENS7_IJSI_SJ_SK_SO_SN_EEENS7_IJSM_SN_SO_NSH_IJLi5ELi6EEEENSH_IJLi7EEEEEEENSH_IJLi5ELi7ELi6EEEElEES16_NS6_INS7_IJSD_SF_SF_NSW_INS7_IJiNSA_IiLi256EEEEEELb0EEENSW_INS7_IJiNSA_IiLi128EEEEEELb0EEEEEENS7_IJSI_SJ_SK_SN_SO_EEENS7_IJSM_SN_SO_S12_NSH_IJLi7ELi8EEEEEEENSH_IJLi5ELi6ELi7ELi8EEEElEENS_13TensorAdaptorINS7_IJNSW_ISC_Lb0EEES1K_NS_23Merge_v2_magic_divisionINS7_IJiiSB_SB_EEEEEEEENS7_IJSI_SJ_NSH_IJLi2ELi3ELi4ELi5EEEEEEENS7_IJNSH_IJLi2ELi4EEEENSH_IJLi3ELi5EEEENSH_IJLi6EEEEEEENSH_IJLi0ELi1EEEES1T_EELb1EEEvPKT0_S1Z_PT1_T2_T3_T4_T5_T6_T7_T8_.uses_flat_scratch, 0
	.set _ZN2ck37kernel_gemm_xdl_waveletmodel_cshuffleINS_53GridwiseGemm_k0mk1_k0nk1_mn_xdl_waveletmodel_cshuffleIDF16_fDF16_DF16_NS_16tensor_operation12element_wise11PassThroughES4_S4_LNS_25InMemoryDataOperationEnumE0ENS_16TensorDescriptorINS_5TupleIJNS_5EmbedINS7_IJiiEEENS7_IJiNS_17integral_constantIiLi1EEEEEELb0EEENS_11PassThroughIiEESF_EEENS7_IJNS_8SequenceIJLi0EEEENSH_IJLi1EEEENSH_IJLi2EEEEEEENS7_IJNSH_IJLi1ELi2EEEENSH_IJLi3EEEENSH_IJLi4EEEEEEENSH_IJLi3ELi4EEEElEESR_SR_Li1ELi256ELi256ELi256ELi128ELi32ELi8ELi8ELi16ELi16ELi8ELi4ENSH_IJLi4ELi64ELi1EEEENSH_IJLi1ELi0ELi2EEEEST_Li2ELi8ELi8ELb0ELi1ESS_ST_ST_Li2ELi8ELi8ELb0ELi1ELi1ELi1ENSH_IJLi1ELi32ELi1ELi8EEEELi4EEEDF16_DF16_S4_S4_S4_NS6_INS7_IJSD_SF_SF_NS_7UnMergeINS7_IJiNSA_IiLi8EEEEEELb0EEESF_EEENS7_IJSI_SJ_SK_SO_SN_EEENS7_IJSM_SN_SO_NSH_IJLi5ELi6EEEENSH_IJLi7EEEEEEENSH_IJLi5ELi7ELi6EEEElEES16_NS6_INS7_IJSD_SF_SF_NSW_INS7_IJiNSA_IiLi256EEEEEELb0EEENSW_INS7_IJiNSA_IiLi128EEEEEELb0EEEEEENS7_IJSI_SJ_SK_SN_SO_EEENS7_IJSM_SN_SO_S12_NSH_IJLi7ELi8EEEEEEENSH_IJLi5ELi6ELi7ELi8EEEElEENS_13TensorAdaptorINS7_IJNSW_ISC_Lb0EEES1K_NS_23Merge_v2_magic_divisionINS7_IJiiSB_SB_EEEEEEEENS7_IJSI_SJ_NSH_IJLi2ELi3ELi4ELi5EEEEEEENS7_IJNSH_IJLi2ELi4EEEENSH_IJLi3ELi5EEEENSH_IJLi6EEEEEEENSH_IJLi0ELi1EEEES1T_EELb1EEEvPKT0_S1Z_PT1_T2_T3_T4_T5_T6_T7_T8_.has_dyn_sized_stack, 0
	.set _ZN2ck37kernel_gemm_xdl_waveletmodel_cshuffleINS_53GridwiseGemm_k0mk1_k0nk1_mn_xdl_waveletmodel_cshuffleIDF16_fDF16_DF16_NS_16tensor_operation12element_wise11PassThroughES4_S4_LNS_25InMemoryDataOperationEnumE0ENS_16TensorDescriptorINS_5TupleIJNS_5EmbedINS7_IJiiEEENS7_IJiNS_17integral_constantIiLi1EEEEEELb0EEENS_11PassThroughIiEESF_EEENS7_IJNS_8SequenceIJLi0EEEENSH_IJLi1EEEENSH_IJLi2EEEEEEENS7_IJNSH_IJLi1ELi2EEEENSH_IJLi3EEEENSH_IJLi4EEEEEEENSH_IJLi3ELi4EEEElEESR_SR_Li1ELi256ELi256ELi256ELi128ELi32ELi8ELi8ELi16ELi16ELi8ELi4ENSH_IJLi4ELi64ELi1EEEENSH_IJLi1ELi0ELi2EEEEST_Li2ELi8ELi8ELb0ELi1ESS_ST_ST_Li2ELi8ELi8ELb0ELi1ELi1ELi1ENSH_IJLi1ELi32ELi1ELi8EEEELi4EEEDF16_DF16_S4_S4_S4_NS6_INS7_IJSD_SF_SF_NS_7UnMergeINS7_IJiNSA_IiLi8EEEEEELb0EEESF_EEENS7_IJSI_SJ_SK_SO_SN_EEENS7_IJSM_SN_SO_NSH_IJLi5ELi6EEEENSH_IJLi7EEEEEEENSH_IJLi5ELi7ELi6EEEElEES16_NS6_INS7_IJSD_SF_SF_NSW_INS7_IJiNSA_IiLi256EEEEEELb0EEENSW_INS7_IJiNSA_IiLi128EEEEEELb0EEEEEENS7_IJSI_SJ_SK_SN_SO_EEENS7_IJSM_SN_SO_S12_NSH_IJLi7ELi8EEEEEEENSH_IJLi5ELi6ELi7ELi8EEEElEENS_13TensorAdaptorINS7_IJNSW_ISC_Lb0EEES1K_NS_23Merge_v2_magic_divisionINS7_IJiiSB_SB_EEEEEEEENS7_IJSI_SJ_NSH_IJLi2ELi3ELi4ELi5EEEEEEENS7_IJNSH_IJLi2ELi4EEEENSH_IJLi3ELi5EEEENSH_IJLi6EEEEEEENSH_IJLi0ELi1EEEES1T_EELb1EEEvPKT0_S1Z_PT1_T2_T3_T4_T5_T6_T7_T8_.has_recursion, 0
	.set _ZN2ck37kernel_gemm_xdl_waveletmodel_cshuffleINS_53GridwiseGemm_k0mk1_k0nk1_mn_xdl_waveletmodel_cshuffleIDF16_fDF16_DF16_NS_16tensor_operation12element_wise11PassThroughES4_S4_LNS_25InMemoryDataOperationEnumE0ENS_16TensorDescriptorINS_5TupleIJNS_5EmbedINS7_IJiiEEENS7_IJiNS_17integral_constantIiLi1EEEEEELb0EEENS_11PassThroughIiEESF_EEENS7_IJNS_8SequenceIJLi0EEEENSH_IJLi1EEEENSH_IJLi2EEEEEEENS7_IJNSH_IJLi1ELi2EEEENSH_IJLi3EEEENSH_IJLi4EEEEEEENSH_IJLi3ELi4EEEElEESR_SR_Li1ELi256ELi256ELi256ELi128ELi32ELi8ELi8ELi16ELi16ELi8ELi4ENSH_IJLi4ELi64ELi1EEEENSH_IJLi1ELi0ELi2EEEEST_Li2ELi8ELi8ELb0ELi1ESS_ST_ST_Li2ELi8ELi8ELb0ELi1ELi1ELi1ENSH_IJLi1ELi32ELi1ELi8EEEELi4EEEDF16_DF16_S4_S4_S4_NS6_INS7_IJSD_SF_SF_NS_7UnMergeINS7_IJiNSA_IiLi8EEEEEELb0EEESF_EEENS7_IJSI_SJ_SK_SO_SN_EEENS7_IJSM_SN_SO_NSH_IJLi5ELi6EEEENSH_IJLi7EEEEEEENSH_IJLi5ELi7ELi6EEEElEES16_NS6_INS7_IJSD_SF_SF_NSW_INS7_IJiNSA_IiLi256EEEEEELb0EEENSW_INS7_IJiNSA_IiLi128EEEEEELb0EEEEEENS7_IJSI_SJ_SK_SN_SO_EEENS7_IJSM_SN_SO_S12_NSH_IJLi7ELi8EEEEEEENSH_IJLi5ELi6ELi7ELi8EEEElEENS_13TensorAdaptorINS7_IJNSW_ISC_Lb0EEES1K_NS_23Merge_v2_magic_divisionINS7_IJiiSB_SB_EEEEEEEENS7_IJSI_SJ_NSH_IJLi2ELi3ELi4ELi5EEEEEEENS7_IJNSH_IJLi2ELi4EEEENSH_IJLi3ELi5EEEENSH_IJLi6EEEEEEENSH_IJLi0ELi1EEEES1T_EELb1EEEvPKT0_S1Z_PT1_T2_T3_T4_T5_T6_T7_T8_.has_indirect_call, 0
	.section	.AMDGPU.csdata,"",@progbits
; Kernel info:
; codeLenInByte = 5312
; TotalNumSgprs: 25
; NumVgprs: 158
; NumAgprs: 0
; TotalNumVgprs: 158
; ScratchSize: 0
; MemoryBound: 0
; FloatMode: 240
; IeeeMode: 1
; LDSByteSize: 24672 bytes/workgroup (compile time only)
; SGPRBlocks: 3
; VGPRBlocks: 19
; NumSGPRsForWavesPerEU: 25
; NumVGPRsForWavesPerEU: 158
; AccumOffset: 160
; Occupancy: 3
; WaveLimiterHint : 1
; COMPUTE_PGM_RSRC2:SCRATCH_EN: 0
; COMPUTE_PGM_RSRC2:USER_SGPR: 2
; COMPUTE_PGM_RSRC2:TRAP_HANDLER: 0
; COMPUTE_PGM_RSRC2:TGID_X_EN: 1
; COMPUTE_PGM_RSRC2:TGID_Y_EN: 0
; COMPUTE_PGM_RSRC2:TGID_Z_EN: 0
; COMPUTE_PGM_RSRC2:TIDIG_COMP_CNT: 0
; COMPUTE_PGM_RSRC3_GFX90A:ACCUM_OFFSET: 39
; COMPUTE_PGM_RSRC3_GFX90A:TG_SPLIT: 0
	.section	.text._ZN2ck37kernel_gemm_xdl_waveletmodel_cshuffleINS_53GridwiseGemm_k0mk1_k0nk1_mn_xdl_waveletmodel_cshuffleIDF16_fDF16_DF16_NS_16tensor_operation12element_wise11PassThroughES4_S4_LNS_25InMemoryDataOperationEnumE0ENS_16TensorDescriptorINS_5TupleIJNS_5EmbedINS7_IJiiEEENS7_IJiNS_17integral_constantIiLi1EEEEEELb0EEENS_11PassThroughIiEESF_EEENS7_IJNS_8SequenceIJLi0EEEENSH_IJLi1EEEENSH_IJLi2EEEEEEENS7_IJNSH_IJLi1ELi2EEEENSH_IJLi3EEEENSH_IJLi4EEEEEEENSH_IJLi3ELi4EEEElEESR_SR_Li1ELi256ELi256ELi256ELi128ELi32ELi8ELi8ELi16ELi16ELi8ELi4ENSH_IJLi4ELi64ELi1EEEENSH_IJLi1ELi0ELi2EEEEST_Li2ELi8ELi8ELb0ELi1ESS_ST_ST_Li2ELi8ELi8ELb0ELi1ELi1ELi1ENSH_IJLi1ELi32ELi1ELi8EEEELi4EEEDF16_DF16_S4_S4_S4_NS6_INS7_IJSD_SF_SF_NS_7UnMergeINS7_IJiNSA_IiLi8EEEEEELb0EEESF_EEENS7_IJSI_SJ_SK_SO_SN_EEENS7_IJSM_SN_SO_NSH_IJLi5ELi6EEEENSH_IJLi7EEEEEEENSH_IJLi5ELi7ELi6EEEElEES16_NS6_INS7_IJSD_SF_SF_NSW_INS7_IJiNSA_IiLi256EEEEEELb0EEENSW_INS7_IJiNSA_IiLi128EEEEEELb0EEEEEENS7_IJSI_SJ_SK_SN_SO_EEENS7_IJSM_SN_SO_S12_NSH_IJLi7ELi8EEEEEEENSH_IJLi5ELi6ELi7ELi8EEEElEENS_13TensorAdaptorINS7_IJNSW_ISC_Lb0EEES1K_NS_23Merge_v2_magic_divisionINS7_IJiiSB_SB_EEEEEEEENS7_IJSI_SJ_NSH_IJLi2ELi3ELi4ELi5EEEEEEENS7_IJNSH_IJLi2ELi4EEEENSH_IJLi3ELi5EEEENSH_IJLi6EEEEEEENSH_IJLi0ELi1EEEES1T_EELb0EEEvPKT0_S1Z_PT1_T2_T3_T4_T5_T6_T7_T8_,"axG",@progbits,_ZN2ck37kernel_gemm_xdl_waveletmodel_cshuffleINS_53GridwiseGemm_k0mk1_k0nk1_mn_xdl_waveletmodel_cshuffleIDF16_fDF16_DF16_NS_16tensor_operation12element_wise11PassThroughES4_S4_LNS_25InMemoryDataOperationEnumE0ENS_16TensorDescriptorINS_5TupleIJNS_5EmbedINS7_IJiiEEENS7_IJiNS_17integral_constantIiLi1EEEEEELb0EEENS_11PassThroughIiEESF_EEENS7_IJNS_8SequenceIJLi0EEEENSH_IJLi1EEEENSH_IJLi2EEEEEEENS7_IJNSH_IJLi1ELi2EEEENSH_IJLi3EEEENSH_IJLi4EEEEEEENSH_IJLi3ELi4EEEElEESR_SR_Li1ELi256ELi256ELi256ELi128ELi32ELi8ELi8ELi16ELi16ELi8ELi4ENSH_IJLi4ELi64ELi1EEEENSH_IJLi1ELi0ELi2EEEEST_Li2ELi8ELi8ELb0ELi1ESS_ST_ST_Li2ELi8ELi8ELb0ELi1ELi1ELi1ENSH_IJLi1ELi32ELi1ELi8EEEELi4EEEDF16_DF16_S4_S4_S4_NS6_INS7_IJSD_SF_SF_NS_7UnMergeINS7_IJiNSA_IiLi8EEEEEELb0EEESF_EEENS7_IJSI_SJ_SK_SO_SN_EEENS7_IJSM_SN_SO_NSH_IJLi5ELi6EEEENSH_IJLi7EEEEEEENSH_IJLi5ELi7ELi6EEEElEES16_NS6_INS7_IJSD_SF_SF_NSW_INS7_IJiNSA_IiLi256EEEEEELb0EEENSW_INS7_IJiNSA_IiLi128EEEEEELb0EEEEEENS7_IJSI_SJ_SK_SN_SO_EEENS7_IJSM_SN_SO_S12_NSH_IJLi7ELi8EEEEEEENSH_IJLi5ELi6ELi7ELi8EEEElEENS_13TensorAdaptorINS7_IJNSW_ISC_Lb0EEES1K_NS_23Merge_v2_magic_divisionINS7_IJiiSB_SB_EEEEEEEENS7_IJSI_SJ_NSH_IJLi2ELi3ELi4ELi5EEEEEEENS7_IJNSH_IJLi2ELi4EEEENSH_IJLi3ELi5EEEENSH_IJLi6EEEEEEENSH_IJLi0ELi1EEEES1T_EELb0EEEvPKT0_S1Z_PT1_T2_T3_T4_T5_T6_T7_T8_,comdat
	.protected	_ZN2ck37kernel_gemm_xdl_waveletmodel_cshuffleINS_53GridwiseGemm_k0mk1_k0nk1_mn_xdl_waveletmodel_cshuffleIDF16_fDF16_DF16_NS_16tensor_operation12element_wise11PassThroughES4_S4_LNS_25InMemoryDataOperationEnumE0ENS_16TensorDescriptorINS_5TupleIJNS_5EmbedINS7_IJiiEEENS7_IJiNS_17integral_constantIiLi1EEEEEELb0EEENS_11PassThroughIiEESF_EEENS7_IJNS_8SequenceIJLi0EEEENSH_IJLi1EEEENSH_IJLi2EEEEEEENS7_IJNSH_IJLi1ELi2EEEENSH_IJLi3EEEENSH_IJLi4EEEEEEENSH_IJLi3ELi4EEEElEESR_SR_Li1ELi256ELi256ELi256ELi128ELi32ELi8ELi8ELi16ELi16ELi8ELi4ENSH_IJLi4ELi64ELi1EEEENSH_IJLi1ELi0ELi2EEEEST_Li2ELi8ELi8ELb0ELi1ESS_ST_ST_Li2ELi8ELi8ELb0ELi1ELi1ELi1ENSH_IJLi1ELi32ELi1ELi8EEEELi4EEEDF16_DF16_S4_S4_S4_NS6_INS7_IJSD_SF_SF_NS_7UnMergeINS7_IJiNSA_IiLi8EEEEEELb0EEESF_EEENS7_IJSI_SJ_SK_SO_SN_EEENS7_IJSM_SN_SO_NSH_IJLi5ELi6EEEENSH_IJLi7EEEEEEENSH_IJLi5ELi7ELi6EEEElEES16_NS6_INS7_IJSD_SF_SF_NSW_INS7_IJiNSA_IiLi256EEEEEELb0EEENSW_INS7_IJiNSA_IiLi128EEEEEELb0EEEEEENS7_IJSI_SJ_SK_SN_SO_EEENS7_IJSM_SN_SO_S12_NSH_IJLi7ELi8EEEEEEENSH_IJLi5ELi6ELi7ELi8EEEElEENS_13TensorAdaptorINS7_IJNSW_ISC_Lb0EEES1K_NS_23Merge_v2_magic_divisionINS7_IJiiSB_SB_EEEEEEEENS7_IJSI_SJ_NSH_IJLi2ELi3ELi4ELi5EEEEEEENS7_IJNSH_IJLi2ELi4EEEENSH_IJLi3ELi5EEEENSH_IJLi6EEEEEEENSH_IJLi0ELi1EEEES1T_EELb0EEEvPKT0_S1Z_PT1_T2_T3_T4_T5_T6_T7_T8_ ; -- Begin function _ZN2ck37kernel_gemm_xdl_waveletmodel_cshuffleINS_53GridwiseGemm_k0mk1_k0nk1_mn_xdl_waveletmodel_cshuffleIDF16_fDF16_DF16_NS_16tensor_operation12element_wise11PassThroughES4_S4_LNS_25InMemoryDataOperationEnumE0ENS_16TensorDescriptorINS_5TupleIJNS_5EmbedINS7_IJiiEEENS7_IJiNS_17integral_constantIiLi1EEEEEELb0EEENS_11PassThroughIiEESF_EEENS7_IJNS_8SequenceIJLi0EEEENSH_IJLi1EEEENSH_IJLi2EEEEEEENS7_IJNSH_IJLi1ELi2EEEENSH_IJLi3EEEENSH_IJLi4EEEEEEENSH_IJLi3ELi4EEEElEESR_SR_Li1ELi256ELi256ELi256ELi128ELi32ELi8ELi8ELi16ELi16ELi8ELi4ENSH_IJLi4ELi64ELi1EEEENSH_IJLi1ELi0ELi2EEEEST_Li2ELi8ELi8ELb0ELi1ESS_ST_ST_Li2ELi8ELi8ELb0ELi1ELi1ELi1ENSH_IJLi1ELi32ELi1ELi8EEEELi4EEEDF16_DF16_S4_S4_S4_NS6_INS7_IJSD_SF_SF_NS_7UnMergeINS7_IJiNSA_IiLi8EEEEEELb0EEESF_EEENS7_IJSI_SJ_SK_SO_SN_EEENS7_IJSM_SN_SO_NSH_IJLi5ELi6EEEENSH_IJLi7EEEEEEENSH_IJLi5ELi7ELi6EEEElEES16_NS6_INS7_IJSD_SF_SF_NSW_INS7_IJiNSA_IiLi256EEEEEELb0EEENSW_INS7_IJiNSA_IiLi128EEEEEELb0EEEEEENS7_IJSI_SJ_SK_SN_SO_EEENS7_IJSM_SN_SO_S12_NSH_IJLi7ELi8EEEEEEENSH_IJLi5ELi6ELi7ELi8EEEElEENS_13TensorAdaptorINS7_IJNSW_ISC_Lb0EEES1K_NS_23Merge_v2_magic_divisionINS7_IJiiSB_SB_EEEEEEEENS7_IJSI_SJ_NSH_IJLi2ELi3ELi4ELi5EEEEEEENS7_IJNSH_IJLi2ELi4EEEENSH_IJLi3ELi5EEEENSH_IJLi6EEEEEEENSH_IJLi0ELi1EEEES1T_EELb0EEEvPKT0_S1Z_PT1_T2_T3_T4_T5_T6_T7_T8_
	.globl	_ZN2ck37kernel_gemm_xdl_waveletmodel_cshuffleINS_53GridwiseGemm_k0mk1_k0nk1_mn_xdl_waveletmodel_cshuffleIDF16_fDF16_DF16_NS_16tensor_operation12element_wise11PassThroughES4_S4_LNS_25InMemoryDataOperationEnumE0ENS_16TensorDescriptorINS_5TupleIJNS_5EmbedINS7_IJiiEEENS7_IJiNS_17integral_constantIiLi1EEEEEELb0EEENS_11PassThroughIiEESF_EEENS7_IJNS_8SequenceIJLi0EEEENSH_IJLi1EEEENSH_IJLi2EEEEEEENS7_IJNSH_IJLi1ELi2EEEENSH_IJLi3EEEENSH_IJLi4EEEEEEENSH_IJLi3ELi4EEEElEESR_SR_Li1ELi256ELi256ELi256ELi128ELi32ELi8ELi8ELi16ELi16ELi8ELi4ENSH_IJLi4ELi64ELi1EEEENSH_IJLi1ELi0ELi2EEEEST_Li2ELi8ELi8ELb0ELi1ESS_ST_ST_Li2ELi8ELi8ELb0ELi1ELi1ELi1ENSH_IJLi1ELi32ELi1ELi8EEEELi4EEEDF16_DF16_S4_S4_S4_NS6_INS7_IJSD_SF_SF_NS_7UnMergeINS7_IJiNSA_IiLi8EEEEEELb0EEESF_EEENS7_IJSI_SJ_SK_SO_SN_EEENS7_IJSM_SN_SO_NSH_IJLi5ELi6EEEENSH_IJLi7EEEEEEENSH_IJLi5ELi7ELi6EEEElEES16_NS6_INS7_IJSD_SF_SF_NSW_INS7_IJiNSA_IiLi256EEEEEELb0EEENSW_INS7_IJiNSA_IiLi128EEEEEELb0EEEEEENS7_IJSI_SJ_SK_SN_SO_EEENS7_IJSM_SN_SO_S12_NSH_IJLi7ELi8EEEEEEENSH_IJLi5ELi6ELi7ELi8EEEElEENS_13TensorAdaptorINS7_IJNSW_ISC_Lb0EEES1K_NS_23Merge_v2_magic_divisionINS7_IJiiSB_SB_EEEEEEEENS7_IJSI_SJ_NSH_IJLi2ELi3ELi4ELi5EEEEEEENS7_IJNSH_IJLi2ELi4EEEENSH_IJLi3ELi5EEEENSH_IJLi6EEEEEEENSH_IJLi0ELi1EEEES1T_EELb0EEEvPKT0_S1Z_PT1_T2_T3_T4_T5_T6_T7_T8_
	.p2align	8
	.type	_ZN2ck37kernel_gemm_xdl_waveletmodel_cshuffleINS_53GridwiseGemm_k0mk1_k0nk1_mn_xdl_waveletmodel_cshuffleIDF16_fDF16_DF16_NS_16tensor_operation12element_wise11PassThroughES4_S4_LNS_25InMemoryDataOperationEnumE0ENS_16TensorDescriptorINS_5TupleIJNS_5EmbedINS7_IJiiEEENS7_IJiNS_17integral_constantIiLi1EEEEEELb0EEENS_11PassThroughIiEESF_EEENS7_IJNS_8SequenceIJLi0EEEENSH_IJLi1EEEENSH_IJLi2EEEEEEENS7_IJNSH_IJLi1ELi2EEEENSH_IJLi3EEEENSH_IJLi4EEEEEEENSH_IJLi3ELi4EEEElEESR_SR_Li1ELi256ELi256ELi256ELi128ELi32ELi8ELi8ELi16ELi16ELi8ELi4ENSH_IJLi4ELi64ELi1EEEENSH_IJLi1ELi0ELi2EEEEST_Li2ELi8ELi8ELb0ELi1ESS_ST_ST_Li2ELi8ELi8ELb0ELi1ELi1ELi1ENSH_IJLi1ELi32ELi1ELi8EEEELi4EEEDF16_DF16_S4_S4_S4_NS6_INS7_IJSD_SF_SF_NS_7UnMergeINS7_IJiNSA_IiLi8EEEEEELb0EEESF_EEENS7_IJSI_SJ_SK_SO_SN_EEENS7_IJSM_SN_SO_NSH_IJLi5ELi6EEEENSH_IJLi7EEEEEEENSH_IJLi5ELi7ELi6EEEElEES16_NS6_INS7_IJSD_SF_SF_NSW_INS7_IJiNSA_IiLi256EEEEEELb0EEENSW_INS7_IJiNSA_IiLi128EEEEEELb0EEEEEENS7_IJSI_SJ_SK_SN_SO_EEENS7_IJSM_SN_SO_S12_NSH_IJLi7ELi8EEEEEEENSH_IJLi5ELi6ELi7ELi8EEEElEENS_13TensorAdaptorINS7_IJNSW_ISC_Lb0EEES1K_NS_23Merge_v2_magic_divisionINS7_IJiiSB_SB_EEEEEEEENS7_IJSI_SJ_NSH_IJLi2ELi3ELi4ELi5EEEEEEENS7_IJNSH_IJLi2ELi4EEEENSH_IJLi3ELi5EEEENSH_IJLi6EEEEEEENSH_IJLi0ELi1EEEES1T_EELb0EEEvPKT0_S1Z_PT1_T2_T3_T4_T5_T6_T7_T8_,@function
_ZN2ck37kernel_gemm_xdl_waveletmodel_cshuffleINS_53GridwiseGemm_k0mk1_k0nk1_mn_xdl_waveletmodel_cshuffleIDF16_fDF16_DF16_NS_16tensor_operation12element_wise11PassThroughES4_S4_LNS_25InMemoryDataOperationEnumE0ENS_16TensorDescriptorINS_5TupleIJNS_5EmbedINS7_IJiiEEENS7_IJiNS_17integral_constantIiLi1EEEEEELb0EEENS_11PassThroughIiEESF_EEENS7_IJNS_8SequenceIJLi0EEEENSH_IJLi1EEEENSH_IJLi2EEEEEEENS7_IJNSH_IJLi1ELi2EEEENSH_IJLi3EEEENSH_IJLi4EEEEEEENSH_IJLi3ELi4EEEElEESR_SR_Li1ELi256ELi256ELi256ELi128ELi32ELi8ELi8ELi16ELi16ELi8ELi4ENSH_IJLi4ELi64ELi1EEEENSH_IJLi1ELi0ELi2EEEEST_Li2ELi8ELi8ELb0ELi1ESS_ST_ST_Li2ELi8ELi8ELb0ELi1ELi1ELi1ENSH_IJLi1ELi32ELi1ELi8EEEELi4EEEDF16_DF16_S4_S4_S4_NS6_INS7_IJSD_SF_SF_NS_7UnMergeINS7_IJiNSA_IiLi8EEEEEELb0EEESF_EEENS7_IJSI_SJ_SK_SO_SN_EEENS7_IJSM_SN_SO_NSH_IJLi5ELi6EEEENSH_IJLi7EEEEEEENSH_IJLi5ELi7ELi6EEEElEES16_NS6_INS7_IJSD_SF_SF_NSW_INS7_IJiNSA_IiLi256EEEEEELb0EEENSW_INS7_IJiNSA_IiLi128EEEEEELb0EEEEEENS7_IJSI_SJ_SK_SN_SO_EEENS7_IJSM_SN_SO_S12_NSH_IJLi7ELi8EEEEEEENSH_IJLi5ELi6ELi7ELi8EEEElEENS_13TensorAdaptorINS7_IJNSW_ISC_Lb0EEES1K_NS_23Merge_v2_magic_divisionINS7_IJiiSB_SB_EEEEEEEENS7_IJSI_SJ_NSH_IJLi2ELi3ELi4ELi5EEEEEEENS7_IJNSH_IJLi2ELi4EEEENSH_IJLi3ELi5EEEENSH_IJLi6EEEEEEENSH_IJLi0ELi1EEEES1T_EELb0EEEvPKT0_S1Z_PT1_T2_T3_T4_T5_T6_T7_T8_: ; @_ZN2ck37kernel_gemm_xdl_waveletmodel_cshuffleINS_53GridwiseGemm_k0mk1_k0nk1_mn_xdl_waveletmodel_cshuffleIDF16_fDF16_DF16_NS_16tensor_operation12element_wise11PassThroughES4_S4_LNS_25InMemoryDataOperationEnumE0ENS_16TensorDescriptorINS_5TupleIJNS_5EmbedINS7_IJiiEEENS7_IJiNS_17integral_constantIiLi1EEEEEELb0EEENS_11PassThroughIiEESF_EEENS7_IJNS_8SequenceIJLi0EEEENSH_IJLi1EEEENSH_IJLi2EEEEEEENS7_IJNSH_IJLi1ELi2EEEENSH_IJLi3EEEENSH_IJLi4EEEEEEENSH_IJLi3ELi4EEEElEESR_SR_Li1ELi256ELi256ELi256ELi128ELi32ELi8ELi8ELi16ELi16ELi8ELi4ENSH_IJLi4ELi64ELi1EEEENSH_IJLi1ELi0ELi2EEEEST_Li2ELi8ELi8ELb0ELi1ESS_ST_ST_Li2ELi8ELi8ELb0ELi1ELi1ELi1ENSH_IJLi1ELi32ELi1ELi8EEEELi4EEEDF16_DF16_S4_S4_S4_NS6_INS7_IJSD_SF_SF_NS_7UnMergeINS7_IJiNSA_IiLi8EEEEEELb0EEESF_EEENS7_IJSI_SJ_SK_SO_SN_EEENS7_IJSM_SN_SO_NSH_IJLi5ELi6EEEENSH_IJLi7EEEEEEENSH_IJLi5ELi7ELi6EEEElEES16_NS6_INS7_IJSD_SF_SF_NSW_INS7_IJiNSA_IiLi256EEEEEELb0EEENSW_INS7_IJiNSA_IiLi128EEEEEELb0EEEEEENS7_IJSI_SJ_SK_SN_SO_EEENS7_IJSM_SN_SO_S12_NSH_IJLi7ELi8EEEEEEENSH_IJLi5ELi6ELi7ELi8EEEElEENS_13TensorAdaptorINS7_IJNSW_ISC_Lb0EEES1K_NS_23Merge_v2_magic_divisionINS7_IJiiSB_SB_EEEEEEEENS7_IJSI_SJ_NSH_IJLi2ELi3ELi4ELi5EEEEEEENS7_IJNSH_IJLi2ELi4EEEENSH_IJLi3ELi5EEEENSH_IJLi6EEEEEEENSH_IJLi0ELi1EEEES1T_EELb0EEEvPKT0_S1Z_PT1_T2_T3_T4_T5_T6_T7_T8_
; %bb.0:
	s_load_dword s3, s[0:1], 0xf8
	s_load_dword s4, s[0:1], 0x104
	;; [unrolled: 1-line block ×3, first 2 shown]
	s_waitcnt lgkmcnt(0)
	s_mul_hi_u32 s3, s3, s2
	s_add_i32 s3, s2, s3
	s_lshr_b32 s9, s3, s4
	s_mul_i32 s3, s9, s5
	s_sub_i32 s8, s2, s3
	s_movk_i32 s2, 0x100
	v_cmp_gt_u32_e32 vcc, s2, v0
	s_and_saveexec_b64 s[2:3], vcc
	s_xor_b64 s[2:3], exec, s[2:3]
	s_cbranch_execnz .LBB2_3
; %bb.1:
	s_andn2_saveexec_b64 s[2:3], s[2:3]
	s_cbranch_execnz .LBB2_4
.LBB2_2:
	s_endpgm
.LBB2_3:
	v_and_b32_e32 v3, 0x80, v0
	v_and_b32_e32 v1, 15, v0
	v_lshlrev_b32_e32 v3, 1, v3
	v_bfe_u32 v2, v0, 4, 2
	v_lshl_or_b32 v3, v1, 4, v3
	s_movk_i32 s4, 0x1010
	v_mad_u32_u24 v10, v2, s4, v3
	v_lshrrev_b32_e32 v54, 2, v0
	s_waitcnt lgkmcnt(0)
	s_barrier
	ds_read_b128 v[42:45], v10
	v_and_b32_e32 v56, 16, v54
	v_or_b32_e32 v4, v56, v1
	v_mul_u32_u24_e32 v2, 0x810, v2
	v_lshl_add_u32 v11, v4, 4, v2
	ds_read_b128 v[2:5], v11 offset:16432
	s_load_dwordx2 s[4:5], s[0:1], 0x10
	s_load_dword s10, s[0:1], 0x98
	s_load_dword s11, s[0:1], 0xc8
	s_waitcnt lgkmcnt(0)
	v_mfma_f32_16x16x32_f16 v[50:53], v[42:45], v[2:5], 0
	v_lshrrev_b32_e32 v57, 3, v0
	v_lshlrev_b32_e32 v0, 2, v0
	v_and_b32_e32 v54, 12, v54
	v_and_b32_e32 v59, 28, v0
	v_and_or_b32 v58, v57, 16, v54
	v_lshl_or_b32 v0, s8, 7, v59
	v_lshl_or_b32 v54, s9, 8, v57
	v_mad_u64_u32 v[54:55], s[6:7], v54, s10, v[0:1]
	ds_read_b128 v[6:9], v11 offset:16944
	ds_read_b128 v[46:49], v10 offset:512
	v_cvt_f16_f32_e32 v50, v50
	v_lshlrev_b32_e32 v0, 1, v56
	v_lshlrev_b32_e32 v55, 6, v58
	;; [unrolled: 1-line block ×3, first 2 shown]
	v_or3_b32 v0, v0, v55, v1
	v_cvt_f16_f32_e32 v1, v51
	v_cvt_f16_f32_e32 v55, v52
	;; [unrolled: 1-line block ×3, first 2 shown]
	ds_read_b128 v[14:17], v11 offset:17456
	ds_read_b128 v[18:21], v11 offset:17968
	;; [unrolled: 1-line block ×8, first 2 shown]
	s_waitcnt lgkmcnt(0)
	s_barrier
	ds_write_b16 v0, v50
	v_mfma_f32_16x16x32_f16 v[50:53], v[42:45], v[6:9], 0
	ds_write_b16 v0, v1 offset:64
	ds_write_b16 v0, v55 offset:128
	;; [unrolled: 1-line block ×3, first 2 shown]
	v_lshlrev_b32_e32 v1, 1, v59
	v_lshl_or_b32 v1, v57, 6, v1
	s_waitcnt lgkmcnt(0)
	s_barrier
	ds_read_b64 v[56:57], v1
	v_cvt_f16_f32_e32 v50, v50
	v_cvt_f16_f32_e32 v51, v51
	v_cvt_f16_f32_e32 v52, v52
	s_lshl_b32 s6, s11, 1
	s_and_b32 s5, s5, 0xffff
	s_mov_b32 s7, 0x20000
	v_lshlrev_b32_e32 v55, 1, v54
	v_cvt_f16_f32_e32 v53, v53
	s_waitcnt lgkmcnt(0)
	buffer_store_dwordx2 v[56:57], v55, s[4:7], 0 offen
	s_waitcnt lgkmcnt(0)
	s_barrier
	ds_write_b16 v0, v50
	ds_write_b16 v0, v51 offset:64
	ds_write_b16 v0, v52 offset:128
	;; [unrolled: 1-line block ×3, first 2 shown]
	v_mfma_f32_16x16x32_f16 v[50:53], v[42:45], v[14:17], 0
	s_waitcnt lgkmcnt(0)
	s_barrier
	ds_read_b64 v[56:57], v1
	v_mfma_f32_16x16x32_f16 v[42:45], v[42:45], v[18:21], 0
	s_lshl_b32 s10, s10, 5
	s_nop 2
	v_cvt_f16_f32_e32 v50, v50
	v_cvt_f16_f32_e32 v51, v51
	;; [unrolled: 1-line block ×4, first 2 shown]
	s_waitcnt lgkmcnt(0)
	buffer_store_dwordx2 v[56:57], v55, s[4:7], 0 offen offset:64
	s_waitcnt lgkmcnt(0)
	s_barrier
	ds_write_b16 v0, v50
	ds_write_b16 v0, v51 offset:64
	ds_write_b16 v0, v52 offset:128
	;; [unrolled: 1-line block ×3, first 2 shown]
	s_waitcnt lgkmcnt(0)
	s_barrier
	ds_read_b64 v[50:51], v1
	v_cvt_f16_f32_e32 v42, v42
	v_cvt_f16_f32_e32 v43, v43
	;; [unrolled: 1-line block ×4, first 2 shown]
	s_waitcnt lgkmcnt(0)
	buffer_store_dwordx2 v[50:51], v55, s[4:7], 0 offen offset:128
	s_waitcnt lgkmcnt(0)
	s_barrier
	ds_write_b16 v0, v42
	ds_write_b16 v0, v43 offset:64
	ds_write_b16 v0, v44 offset:128
	;; [unrolled: 1-line block ×3, first 2 shown]
	v_mfma_f32_16x16x32_f16 v[42:45], v[46:49], v[18:21], 0
	s_waitcnt lgkmcnt(0)
	s_barrier
	ds_read_b64 v[50:51], v1
	v_add_u32_e32 v52, 0x60, v54
	v_lshlrev_b32_e32 v53, 1, v52
	s_nop 2
	v_cvt_f16_f32_e32 v42, v42
	v_cvt_f16_f32_e32 v43, v43
	;; [unrolled: 1-line block ×4, first 2 shown]
	s_waitcnt lgkmcnt(0)
	buffer_store_dwordx2 v[50:51], v53, s[4:7], 0 offen
	s_waitcnt lgkmcnt(0)
	s_barrier
	ds_write_b16 v0, v42
	ds_write_b16 v0, v43 offset:64
	ds_write_b16 v0, v44 offset:128
	;; [unrolled: 1-line block ×3, first 2 shown]
	v_mfma_f32_16x16x32_f16 v[42:45], v[46:49], v[14:17], 0
	s_waitcnt lgkmcnt(0)
	s_barrier
	ds_read_b64 v[50:51], v1
	v_add_lshl_u32 v52, v52, s10, 1
	v_subrev_u32_e32 v53, 64, v52
	s_nop 2
	v_cvt_f16_f32_e32 v42, v42
	v_cvt_f16_f32_e32 v43, v43
	;; [unrolled: 1-line block ×4, first 2 shown]
	s_waitcnt lgkmcnt(0)
	buffer_store_dwordx2 v[50:51], v52, s[4:7], 0 offen
	s_waitcnt lgkmcnt(0)
	s_barrier
	ds_write_b16 v0, v42
	ds_write_b16 v0, v43 offset:64
	ds_write_b16 v0, v44 offset:128
	;; [unrolled: 1-line block ×3, first 2 shown]
	v_mfma_f32_16x16x32_f16 v[42:45], v[46:49], v[6:9], 0
	s_waitcnt lgkmcnt(0)
	s_barrier
	ds_read_b64 v[50:51], v1
	s_waitcnt lgkmcnt(0)
	buffer_store_dwordx2 v[50:51], v53, s[4:7], 0 offen
	s_nop 2
	v_cvt_f16_f32_e32 v42, v42
	v_cvt_f16_f32_e32 v43, v43
	;; [unrolled: 1-line block ×4, first 2 shown]
	s_waitcnt lgkmcnt(0)
	s_barrier
	ds_write_b16 v0, v42
	ds_write_b16 v0, v43 offset:64
	ds_write_b16 v0, v44 offset:128
	;; [unrolled: 1-line block ×3, first 2 shown]
	v_mfma_f32_16x16x32_f16 v[42:45], v[46:49], v[2:5], 0
	s_waitcnt lgkmcnt(0)
	s_barrier
	ds_read_b64 v[50:51], v1
	v_add_u32_e32 v46, 0xffffff80, v52
	v_add_u32_e32 v48, s10, v54
	s_nop 2
	v_cvt_f16_f32_e32 v42, v42
	v_cvt_f16_f32_e32 v43, v43
	;; [unrolled: 1-line block ×4, first 2 shown]
	s_waitcnt lgkmcnt(0)
	buffer_store_dwordx2 v[50:51], v46, s[4:7], 0 offen
	s_waitcnt lgkmcnt(0)
	s_barrier
	ds_write_b16 v0, v42
	ds_write_b16 v0, v43 offset:64
	ds_write_b16 v0, v44 offset:128
	;; [unrolled: 1-line block ×3, first 2 shown]
	v_mfma_f32_16x16x32_f16 v[42:45], v[38:41], v[2:5], 0
	s_waitcnt lgkmcnt(0)
	s_barrier
	ds_read_b64 v[46:47], v1
	v_lshlrev_b32_e32 v49, 1, v48
	v_add_u32_e32 v48, s10, v48
	s_nop 2
	v_cvt_f16_f32_e32 v42, v42
	v_cvt_f16_f32_e32 v43, v43
	;; [unrolled: 1-line block ×4, first 2 shown]
	s_waitcnt lgkmcnt(0)
	buffer_store_dwordx2 v[46:47], v49, s[4:7], 0 offen
	s_waitcnt lgkmcnt(0)
	s_barrier
	ds_write_b16 v0, v42
	ds_write_b16 v0, v43 offset:64
	ds_write_b16 v0, v44 offset:128
	;; [unrolled: 1-line block ×3, first 2 shown]
	v_mfma_f32_16x16x32_f16 v[42:45], v[38:41], v[6:9], 0
	s_waitcnt lgkmcnt(0)
	s_barrier
	ds_read_b64 v[46:47], v1
	v_lshlrev_b32_e32 v49, 1, v48
	s_waitcnt lgkmcnt(0)
	buffer_store_dwordx2 v[46:47], v49, s[4:7], 0 offen
	s_nop 1
	v_cvt_f16_f32_e32 v42, v42
	v_cvt_f16_f32_e32 v43, v43
	;; [unrolled: 1-line block ×4, first 2 shown]
	s_waitcnt lgkmcnt(0)
	s_barrier
	ds_write_b16 v0, v42
	ds_write_b16 v0, v43 offset:64
	ds_write_b16 v0, v44 offset:128
	;; [unrolled: 1-line block ×3, first 2 shown]
	v_mfma_f32_16x16x32_f16 v[42:45], v[38:41], v[14:17], 0
	s_waitcnt lgkmcnt(0)
	s_barrier
	ds_read_b64 v[46:47], v1
	v_mfma_f32_16x16x32_f16 v[38:41], v[38:41], v[18:21], 0
	s_waitcnt lgkmcnt(0)
	buffer_store_dwordx2 v[46:47], v49, s[4:7], 0 offen offset:64
	s_nop 1
	v_cvt_f16_f32_e32 v42, v42
	v_cvt_f16_f32_e32 v43, v43
	;; [unrolled: 1-line block ×4, first 2 shown]
	s_waitcnt lgkmcnt(0)
	s_barrier
	ds_write_b16 v0, v42
	ds_write_b16 v0, v43 offset:64
	ds_write_b16 v0, v44 offset:128
	;; [unrolled: 1-line block ×3, first 2 shown]
	s_waitcnt lgkmcnt(0)
	s_barrier
	ds_read_b64 v[42:43], v1
	v_cvt_f16_f32_e32 v38, v38
	v_cvt_f16_f32_e32 v39, v39
	;; [unrolled: 1-line block ×4, first 2 shown]
	s_waitcnt lgkmcnt(0)
	buffer_store_dwordx2 v[42:43], v49, s[4:7], 0 offen offset:128
	s_waitcnt lgkmcnt(0)
	s_barrier
	ds_write_b16 v0, v38
	ds_write_b16 v0, v39 offset:64
	ds_write_b16 v0, v40 offset:128
	;; [unrolled: 1-line block ×3, first 2 shown]
	v_mfma_f32_16x16x32_f16 v[38:41], v[34:37], v[18:21], 0
	s_waitcnt lgkmcnt(0)
	s_barrier
	ds_read_b64 v[42:43], v1
	v_add_u32_e32 v44, 0x60, v48
	v_lshlrev_b32_e32 v45, 1, v44
	s_nop 2
	v_cvt_f16_f32_e32 v38, v38
	v_cvt_f16_f32_e32 v39, v39
	;; [unrolled: 1-line block ×4, first 2 shown]
	s_waitcnt lgkmcnt(0)
	buffer_store_dwordx2 v[42:43], v45, s[4:7], 0 offen
	s_waitcnt lgkmcnt(0)
	s_barrier
	ds_write_b16 v0, v38
	ds_write_b16 v0, v39 offset:64
	ds_write_b16 v0, v40 offset:128
	;; [unrolled: 1-line block ×3, first 2 shown]
	v_mfma_f32_16x16x32_f16 v[38:41], v[34:37], v[14:17], 0
	s_waitcnt lgkmcnt(0)
	s_barrier
	ds_read_b64 v[42:43], v1
	v_add_lshl_u32 v44, v44, s10, 1
	v_subrev_u32_e32 v45, 64, v44
	s_nop 2
	v_cvt_f16_f32_e32 v38, v38
	v_cvt_f16_f32_e32 v39, v39
	;; [unrolled: 1-line block ×4, first 2 shown]
	s_waitcnt lgkmcnt(0)
	buffer_store_dwordx2 v[42:43], v44, s[4:7], 0 offen
	s_waitcnt lgkmcnt(0)
	s_barrier
	ds_write_b16 v0, v38
	ds_write_b16 v0, v39 offset:64
	ds_write_b16 v0, v40 offset:128
	;; [unrolled: 1-line block ×3, first 2 shown]
	v_mfma_f32_16x16x32_f16 v[38:41], v[34:37], v[6:9], 0
	s_waitcnt lgkmcnt(0)
	s_barrier
	ds_read_b64 v[42:43], v1
	v_mfma_f32_16x16x32_f16 v[34:37], v[34:37], v[2:5], 0
	s_waitcnt lgkmcnt(0)
	buffer_store_dwordx2 v[42:43], v45, s[4:7], 0 offen
	s_nop 1
	v_cvt_f16_f32_e32 v38, v38
	v_cvt_f16_f32_e32 v39, v39
	;; [unrolled: 1-line block ×4, first 2 shown]
	s_waitcnt lgkmcnt(0)
	s_barrier
	ds_write_b16 v0, v38
	ds_write_b16 v0, v39 offset:64
	ds_write_b16 v0, v40 offset:128
	;; [unrolled: 1-line block ×3, first 2 shown]
	s_waitcnt lgkmcnt(0)
	s_barrier
	ds_read_b64 v[38:39], v1
	v_cvt_f16_f32_e32 v34, v34
	v_cvt_f16_f32_e32 v35, v35
	;; [unrolled: 1-line block ×3, first 2 shown]
	v_add_u32_e32 v40, 0xffffff80, v44
	v_cvt_f16_f32_e32 v37, v37
	s_waitcnt lgkmcnt(0)
	buffer_store_dwordx2 v[38:39], v40, s[4:7], 0 offen
	s_waitcnt lgkmcnt(0)
	s_barrier
	ds_write_b16 v0, v34
	ds_write_b16 v0, v35 offset:64
	ds_write_b16 v0, v36 offset:128
	;; [unrolled: 1-line block ×3, first 2 shown]
	v_mfma_f32_16x16x32_f16 v[34:37], v[30:33], v[2:5], 0
	s_waitcnt lgkmcnt(0)
	s_barrier
	ds_read_b64 v[38:39], v1
	v_add_u32_e32 v40, s10, v48
	v_lshlrev_b32_e32 v41, 1, v40
	s_nop 2
	v_cvt_f16_f32_e32 v34, v34
	v_cvt_f16_f32_e32 v35, v35
	;; [unrolled: 1-line block ×4, first 2 shown]
	s_waitcnt lgkmcnt(0)
	buffer_store_dwordx2 v[38:39], v41, s[4:7], 0 offen
	s_waitcnt lgkmcnt(0)
	s_barrier
	ds_write_b16 v0, v34
	ds_write_b16 v0, v35 offset:64
	ds_write_b16 v0, v36 offset:128
	;; [unrolled: 1-line block ×3, first 2 shown]
	v_mfma_f32_16x16x32_f16 v[34:37], v[30:33], v[6:9], 0
	s_waitcnt lgkmcnt(0)
	s_barrier
	ds_read_b64 v[38:39], v1
	v_add_u32_e32 v40, s10, v40
	v_lshlrev_b32_e32 v41, 1, v40
	s_nop 2
	v_cvt_f16_f32_e32 v34, v34
	v_cvt_f16_f32_e32 v35, v35
	;; [unrolled: 1-line block ×4, first 2 shown]
	s_waitcnt lgkmcnt(0)
	buffer_store_dwordx2 v[38:39], v41, s[4:7], 0 offen
	s_waitcnt lgkmcnt(0)
	s_barrier
	ds_write_b16 v0, v34
	ds_write_b16 v0, v35 offset:64
	ds_write_b16 v0, v36 offset:128
	;; [unrolled: 1-line block ×3, first 2 shown]
	v_mfma_f32_16x16x32_f16 v[34:37], v[30:33], v[14:17], 0
	s_waitcnt lgkmcnt(0)
	s_barrier
	ds_read_b64 v[38:39], v1
	v_mfma_f32_16x16x32_f16 v[30:33], v[30:33], v[18:21], 0
	s_waitcnt lgkmcnt(0)
	buffer_store_dwordx2 v[38:39], v41, s[4:7], 0 offen offset:64
	s_nop 1
	v_cvt_f16_f32_e32 v34, v34
	v_cvt_f16_f32_e32 v35, v35
	;; [unrolled: 1-line block ×4, first 2 shown]
	s_waitcnt lgkmcnt(0)
	s_barrier
	ds_write_b16 v0, v34
	ds_write_b16 v0, v35 offset:64
	ds_write_b16 v0, v36 offset:128
	;; [unrolled: 1-line block ×3, first 2 shown]
	s_waitcnt lgkmcnt(0)
	s_barrier
	ds_read_b64 v[34:35], v1
	v_cvt_f16_f32_e32 v30, v30
	v_cvt_f16_f32_e32 v31, v31
	;; [unrolled: 1-line block ×4, first 2 shown]
	s_waitcnt lgkmcnt(0)
	buffer_store_dwordx2 v[34:35], v41, s[4:7], 0 offen offset:128
	s_waitcnt lgkmcnt(0)
	s_barrier
	ds_write_b16 v0, v30
	ds_write_b16 v0, v31 offset:64
	ds_write_b16 v0, v32 offset:128
	;; [unrolled: 1-line block ×3, first 2 shown]
	v_mfma_f32_16x16x32_f16 v[30:33], v[26:29], v[18:21], 0
	s_waitcnt lgkmcnt(0)
	s_barrier
	ds_read_b64 v[34:35], v1
	v_add_u32_e32 v36, 0x60, v40
	v_lshlrev_b32_e32 v37, 1, v36
	s_nop 2
	v_cvt_f16_f32_e32 v30, v30
	v_cvt_f16_f32_e32 v31, v31
	v_cvt_f16_f32_e32 v32, v32
	v_cvt_f16_f32_e32 v33, v33
	s_waitcnt lgkmcnt(0)
	buffer_store_dwordx2 v[34:35], v37, s[4:7], 0 offen
	s_waitcnt lgkmcnt(0)
	s_barrier
	ds_write_b16 v0, v30
	ds_write_b16 v0, v31 offset:64
	ds_write_b16 v0, v32 offset:128
	;; [unrolled: 1-line block ×3, first 2 shown]
	v_mfma_f32_16x16x32_f16 v[30:33], v[26:29], v[14:17], 0
	s_waitcnt lgkmcnt(0)
	s_barrier
	ds_read_b64 v[34:35], v1
	v_add_lshl_u32 v36, v36, s10, 1
	v_subrev_u32_e32 v37, 64, v36
	s_nop 2
	v_cvt_f16_f32_e32 v30, v30
	v_cvt_f16_f32_e32 v31, v31
	;; [unrolled: 1-line block ×4, first 2 shown]
	s_waitcnt lgkmcnt(0)
	buffer_store_dwordx2 v[34:35], v36, s[4:7], 0 offen
	s_waitcnt lgkmcnt(0)
	s_barrier
	ds_write_b16 v0, v30
	ds_write_b16 v0, v31 offset:64
	ds_write_b16 v0, v32 offset:128
	;; [unrolled: 1-line block ×3, first 2 shown]
	v_mfma_f32_16x16x32_f16 v[30:33], v[26:29], v[6:9], 0
	s_waitcnt lgkmcnt(0)
	s_barrier
	ds_read_b64 v[34:35], v1
	v_mfma_f32_16x16x32_f16 v[26:29], v[26:29], v[2:5], 0
	s_waitcnt lgkmcnt(0)
	buffer_store_dwordx2 v[34:35], v37, s[4:7], 0 offen
	s_nop 1
	v_cvt_f16_f32_e32 v30, v30
	v_cvt_f16_f32_e32 v31, v31
	;; [unrolled: 1-line block ×4, first 2 shown]
	s_waitcnt lgkmcnt(0)
	s_barrier
	ds_write_b16 v0, v30
	ds_write_b16 v0, v31 offset:64
	ds_write_b16 v0, v32 offset:128
	;; [unrolled: 1-line block ×3, first 2 shown]
	s_waitcnt lgkmcnt(0)
	s_barrier
	ds_read_b64 v[30:31], v1
	v_cvt_f16_f32_e32 v26, v26
	v_cvt_f16_f32_e32 v27, v27
	;; [unrolled: 1-line block ×3, first 2 shown]
	v_add_u32_e32 v32, 0xffffff80, v36
	v_cvt_f16_f32_e32 v29, v29
	s_waitcnt lgkmcnt(0)
	buffer_store_dwordx2 v[30:31], v32, s[4:7], 0 offen
	s_waitcnt lgkmcnt(0)
	s_barrier
	ds_write_b16 v0, v26
	ds_write_b16 v0, v27 offset:64
	ds_write_b16 v0, v28 offset:128
	;; [unrolled: 1-line block ×3, first 2 shown]
	v_mfma_f32_16x16x32_f16 v[26:29], v[22:25], v[2:5], 0
	s_waitcnt lgkmcnt(0)
	s_barrier
	ds_read_b64 v[30:31], v1
	v_add_u32_e32 v32, s10, v40
	v_lshlrev_b32_e32 v33, 1, v32
	s_nop 2
	v_cvt_f16_f32_e32 v26, v26
	v_cvt_f16_f32_e32 v27, v27
	;; [unrolled: 1-line block ×4, first 2 shown]
	s_waitcnt lgkmcnt(0)
	buffer_store_dwordx2 v[30:31], v33, s[4:7], 0 offen
	s_waitcnt lgkmcnt(0)
	s_barrier
	ds_write_b16 v0, v26
	ds_write_b16 v0, v27 offset:64
	ds_write_b16 v0, v28 offset:128
	;; [unrolled: 1-line block ×3, first 2 shown]
	v_mfma_f32_16x16x32_f16 v[26:29], v[22:25], v[6:9], 0
	s_waitcnt lgkmcnt(0)
	s_barrier
	ds_read_b64 v[30:31], v1
	v_add_u32_e32 v32, s10, v32
	v_lshlrev_b32_e32 v33, 1, v32
	s_nop 2
	v_cvt_f16_f32_e32 v26, v26
	v_cvt_f16_f32_e32 v27, v27
	;; [unrolled: 1-line block ×4, first 2 shown]
	s_waitcnt lgkmcnt(0)
	buffer_store_dwordx2 v[30:31], v33, s[4:7], 0 offen
	s_waitcnt lgkmcnt(0)
	s_barrier
	ds_write_b16 v0, v26
	ds_write_b16 v0, v27 offset:64
	ds_write_b16 v0, v28 offset:128
	;; [unrolled: 1-line block ×3, first 2 shown]
	v_mfma_f32_16x16x32_f16 v[26:29], v[22:25], v[14:17], 0
	s_waitcnt lgkmcnt(0)
	s_barrier
	ds_read_b64 v[30:31], v1
	v_mfma_f32_16x16x32_f16 v[22:25], v[22:25], v[18:21], 0
	s_waitcnt lgkmcnt(0)
	buffer_store_dwordx2 v[30:31], v33, s[4:7], 0 offen offset:64
	s_nop 1
	v_cvt_f16_f32_e32 v26, v26
	v_cvt_f16_f32_e32 v27, v27
	;; [unrolled: 1-line block ×4, first 2 shown]
	s_waitcnt lgkmcnt(0)
	s_barrier
	ds_write_b16 v0, v26
	ds_write_b16 v0, v27 offset:64
	ds_write_b16 v0, v28 offset:128
	;; [unrolled: 1-line block ×3, first 2 shown]
	s_waitcnt lgkmcnt(0)
	s_barrier
	ds_read_b64 v[26:27], v1
	v_cvt_f16_f32_e32 v22, v22
	v_cvt_f16_f32_e32 v23, v23
	v_mfma_f32_16x16x32_f16 v[18:21], v[10:13], v[18:21], 0
	v_cvt_f16_f32_e32 v24, v24
	v_cvt_f16_f32_e32 v25, v25
	s_waitcnt lgkmcnt(0)
	buffer_store_dwordx2 v[26:27], v33, s[4:7], 0 offen offset:128
	s_waitcnt lgkmcnt(0)
	s_barrier
	ds_write_b16 v0, v22
	ds_write_b16 v0, v23 offset:64
	ds_write_b16 v0, v24 offset:128
	;; [unrolled: 1-line block ×3, first 2 shown]
	s_waitcnt lgkmcnt(0)
	s_barrier
	ds_read_b64 v[22:23], v1
	v_cvt_f16_f32_e32 v18, v18
	v_cvt_f16_f32_e32 v19, v19
	v_mfma_f32_16x16x32_f16 v[14:17], v[10:13], v[14:17], 0
	v_add_u32_e32 v24, 0x60, v32
	v_cvt_f16_f32_e32 v20, v20
	v_lshlrev_b32_e32 v25, 1, v24
	v_cvt_f16_f32_e32 v21, v21
	s_waitcnt lgkmcnt(0)
	buffer_store_dwordx2 v[22:23], v25, s[4:7], 0 offen
	s_waitcnt lgkmcnt(0)
	s_barrier
	ds_write_b16 v0, v18
	ds_write_b16 v0, v19 offset:64
	ds_write_b16 v0, v20 offset:128
	;; [unrolled: 1-line block ×3, first 2 shown]
	s_waitcnt lgkmcnt(0)
	s_barrier
	ds_read_b64 v[18:19], v1
	v_cvt_f16_f32_e32 v14, v14
	v_cvt_f16_f32_e32 v15, v15
	v_mfma_f32_16x16x32_f16 v[6:9], v[10:13], v[6:9], 0
	v_cvt_f16_f32_e32 v16, v16
	v_add_lshl_u32 v20, v24, s10, 1
	v_cvt_f16_f32_e32 v17, v17
	s_waitcnt lgkmcnt(0)
	buffer_store_dwordx2 v[18:19], v20, s[4:7], 0 offen
	s_waitcnt lgkmcnt(0)
	s_barrier
	ds_write_b16 v0, v14
	ds_write_b16 v0, v15 offset:64
	ds_write_b16 v0, v16 offset:128
	;; [unrolled: 1-line block ×3, first 2 shown]
	s_waitcnt lgkmcnt(0)
	s_barrier
	ds_read_b64 v[14:15], v1
	v_cvt_f16_f32_e32 v6, v6
	v_cvt_f16_f32_e32 v7, v7
	v_mfma_f32_16x16x32_f16 v[2:5], v[10:13], v[2:5], 0
	v_cvt_f16_f32_e32 v8, v8
	v_subrev_u32_e32 v16, 64, v20
	v_cvt_f16_f32_e32 v9, v9
	s_waitcnt lgkmcnt(0)
	buffer_store_dwordx2 v[14:15], v16, s[4:7], 0 offen
	s_waitcnt lgkmcnt(0)
	s_barrier
	ds_write_b16 v0, v6
	ds_write_b16 v0, v7 offset:64
	ds_write_b16 v0, v8 offset:128
	;; [unrolled: 1-line block ×3, first 2 shown]
	s_waitcnt lgkmcnt(0)
	s_barrier
	ds_read_b64 v[6:7], v1
	v_cvt_f16_f32_e32 v2, v2
	v_cvt_f16_f32_e32 v3, v3
	;; [unrolled: 1-line block ×3, first 2 shown]
	v_add_u32_e32 v8, 0xffffff80, v20
	v_cvt_f16_f32_e32 v5, v5
	s_waitcnt lgkmcnt(0)
	buffer_store_dwordx2 v[6:7], v8, s[4:7], 0 offen
	s_waitcnt lgkmcnt(0)
	s_barrier
	ds_write_b16 v0, v2
	ds_write_b16 v0, v3 offset:64
	ds_write_b16 v0, v4 offset:128
	;; [unrolled: 1-line block ×3, first 2 shown]
	s_waitcnt lgkmcnt(0)
	s_barrier
	ds_read_b64 v[0:1], v1
	v_add_lshl_u32 v2, v32, s10, 1
	s_waitcnt lgkmcnt(0)
	buffer_store_dwordx2 v[0:1], v2, s[4:7], 0 offen
                                        ; implicit-def: $vgpr0
	s_andn2_saveexec_b64 s[2:3], s[2:3]
	s_cbranch_execz .LBB2_2
.LBB2_4:
	s_load_dword s10, s[0:1], 0x28
	s_load_dwordx4 s[4:7], s[0:1], 0x0
	s_load_dword s2, s[0:1], 0x50
	v_and_b32_e32 v1, 0x1fc, v0
	v_add_u32_e32 v26, 0xffffff00, v1
	v_and_b32_e32 v27, 3, v0
	v_lshl_add_u32 v1, s9, 8, v26
	v_lshlrev_b32_e32 v18, 3, v27
	s_load_dword s11, s[0:1], 0x60
	s_load_dword s12, s[0:1], 0x88
                                        ; kill: killed $sgpr0_sgpr1
	s_waitcnt lgkmcnt(0)
	v_mad_u64_u32 v[6:7], s[0:1], v1, s10, v[18:19]
	s_lshl_b32 s2, s2, 1
	s_and_b32 s1, s5, 0xffff
	s_mov_b32 s3, 0x20000
	s_mov_b32 s0, s4
	v_lshlrev_b32_e32 v1, 1, v6
	v_add_u32_e32 v0, 0xffffff00, v0
	buffer_load_dwordx4 v[2:5], v1, s[0:3], 0 offen
	v_add_u32_e32 v1, s10, v6
	v_lshrrev_b32_e32 v0, 1, v0
	v_lshlrev_b32_e32 v6, 1, v1
	v_add_u32_e32 v1, s10, v1
	v_and_b32_e32 v28, 0x7ffffffe, v0
	v_lshlrev_b32_e32 v10, 1, v1
	v_add_lshl_u32 v1, v1, s10, 1
	v_lshl_add_u32 v0, s8, 7, v28
	buffer_load_dwordx4 v[6:9], v6, s[0:3], 0 offen
	s_nop 0
	buffer_load_dwordx4 v[10:13], v10, s[0:3], 0 offen
	s_nop 0
	buffer_load_dwordx4 v[14:17], v1, s[0:3], 0 offen
	v_mad_u64_u32 v[0:1], s[0:1], v0, s11, v[18:19]
	s_lshl_b32 s2, s12, 1
	s_and_b32 s1, s7, 0xffff
	s_mov_b32 s0, s6
	v_lshlrev_b32_e32 v1, 1, v0
	v_add_lshl_u32 v0, v0, s11, 1
	buffer_load_dwordx4 v[18:21], v1, s[0:3], 0 offen
	buffer_load_dwordx4 v[22:25], v0, s[0:3], 0 offen
	v_mul_u32_u24_e32 v0, 0x1010, v27
	v_mul_u32_u24_e32 v1, 0x810, v27
	v_lshl_add_u32 v0, v26, 4, v0
	v_lshl_add_u32 v1, v28, 4, v1
	; sched_group_barrier mask(0x00000020) size(4) SyncID(0)
	; sched_group_barrier mask(0x00000020) size(4) SyncID(0)
	;; [unrolled: 1-line block ×3, first 2 shown]
	s_waitcnt vmcnt(5)
	ds_write_b128 v0, v[2:5]
	s_waitcnt vmcnt(4)
	ds_write_b128 v0, v[6:9] offset:16
	s_waitcnt vmcnt(3)
	ds_write_b128 v0, v[10:13] offset:32
	;; [unrolled: 2-line block ×5, first 2 shown]
	s_waitcnt lgkmcnt(0)
	s_barrier
	s_waitcnt lgkmcnt(0)
	s_barrier
	;; [unrolled: 2-line block ×3, first 2 shown]
	s_endpgm
	.section	.rodata,"a",@progbits
	.p2align	6, 0x0
	.amdhsa_kernel _ZN2ck37kernel_gemm_xdl_waveletmodel_cshuffleINS_53GridwiseGemm_k0mk1_k0nk1_mn_xdl_waveletmodel_cshuffleIDF16_fDF16_DF16_NS_16tensor_operation12element_wise11PassThroughES4_S4_LNS_25InMemoryDataOperationEnumE0ENS_16TensorDescriptorINS_5TupleIJNS_5EmbedINS7_IJiiEEENS7_IJiNS_17integral_constantIiLi1EEEEEELb0EEENS_11PassThroughIiEESF_EEENS7_IJNS_8SequenceIJLi0EEEENSH_IJLi1EEEENSH_IJLi2EEEEEEENS7_IJNSH_IJLi1ELi2EEEENSH_IJLi3EEEENSH_IJLi4EEEEEEENSH_IJLi3ELi4EEEElEESR_SR_Li1ELi256ELi256ELi256ELi128ELi32ELi8ELi8ELi16ELi16ELi8ELi4ENSH_IJLi4ELi64ELi1EEEENSH_IJLi1ELi0ELi2EEEEST_Li2ELi8ELi8ELb0ELi1ESS_ST_ST_Li2ELi8ELi8ELb0ELi1ELi1ELi1ENSH_IJLi1ELi32ELi1ELi8EEEELi4EEEDF16_DF16_S4_S4_S4_NS6_INS7_IJSD_SF_SF_NS_7UnMergeINS7_IJiNSA_IiLi8EEEEEELb0EEESF_EEENS7_IJSI_SJ_SK_SO_SN_EEENS7_IJSM_SN_SO_NSH_IJLi5ELi6EEEENSH_IJLi7EEEEEEENSH_IJLi5ELi7ELi6EEEElEES16_NS6_INS7_IJSD_SF_SF_NSW_INS7_IJiNSA_IiLi256EEEEEELb0EEENSW_INS7_IJiNSA_IiLi128EEEEEELb0EEEEEENS7_IJSI_SJ_SK_SN_SO_EEENS7_IJSM_SN_SO_S12_NSH_IJLi7ELi8EEEEEEENSH_IJLi5ELi6ELi7ELi8EEEElEENS_13TensorAdaptorINS7_IJNSW_ISC_Lb0EEES1K_NS_23Merge_v2_magic_divisionINS7_IJiiSB_SB_EEEEEEEENS7_IJSI_SJ_NSH_IJLi2ELi3ELi4ELi5EEEEEEENS7_IJNSH_IJLi2ELi4EEEENSH_IJLi3ELi5EEEENSH_IJLi6EEEEEEENSH_IJLi0ELi1EEEES1T_EELb0EEEvPKT0_S1Z_PT1_T2_T3_T4_T5_T6_T7_T8_
		.amdhsa_group_segment_fixed_size 24672
		.amdhsa_private_segment_fixed_size 0
		.amdhsa_kernarg_size 276
		.amdhsa_user_sgpr_count 2
		.amdhsa_user_sgpr_dispatch_ptr 0
		.amdhsa_user_sgpr_queue_ptr 0
		.amdhsa_user_sgpr_kernarg_segment_ptr 1
		.amdhsa_user_sgpr_dispatch_id 0
		.amdhsa_user_sgpr_kernarg_preload_length 0
		.amdhsa_user_sgpr_kernarg_preload_offset 0
		.amdhsa_user_sgpr_private_segment_size 0
		.amdhsa_uses_dynamic_stack 0
		.amdhsa_enable_private_segment 0
		.amdhsa_system_sgpr_workgroup_id_x 1
		.amdhsa_system_sgpr_workgroup_id_y 0
		.amdhsa_system_sgpr_workgroup_id_z 0
		.amdhsa_system_sgpr_workgroup_info 0
		.amdhsa_system_vgpr_workitem_id 0
		.amdhsa_next_free_vgpr 60
		.amdhsa_next_free_sgpr 13
		.amdhsa_accum_offset 60
		.amdhsa_reserve_vcc 1
		.amdhsa_float_round_mode_32 0
		.amdhsa_float_round_mode_16_64 0
		.amdhsa_float_denorm_mode_32 3
		.amdhsa_float_denorm_mode_16_64 3
		.amdhsa_dx10_clamp 1
		.amdhsa_ieee_mode 1
		.amdhsa_fp16_overflow 0
		.amdhsa_tg_split 0
		.amdhsa_exception_fp_ieee_invalid_op 0
		.amdhsa_exception_fp_denorm_src 0
		.amdhsa_exception_fp_ieee_div_zero 0
		.amdhsa_exception_fp_ieee_overflow 0
		.amdhsa_exception_fp_ieee_underflow 0
		.amdhsa_exception_fp_ieee_inexact 0
		.amdhsa_exception_int_div_zero 0
	.end_amdhsa_kernel
	.section	.text._ZN2ck37kernel_gemm_xdl_waveletmodel_cshuffleINS_53GridwiseGemm_k0mk1_k0nk1_mn_xdl_waveletmodel_cshuffleIDF16_fDF16_DF16_NS_16tensor_operation12element_wise11PassThroughES4_S4_LNS_25InMemoryDataOperationEnumE0ENS_16TensorDescriptorINS_5TupleIJNS_5EmbedINS7_IJiiEEENS7_IJiNS_17integral_constantIiLi1EEEEEELb0EEENS_11PassThroughIiEESF_EEENS7_IJNS_8SequenceIJLi0EEEENSH_IJLi1EEEENSH_IJLi2EEEEEEENS7_IJNSH_IJLi1ELi2EEEENSH_IJLi3EEEENSH_IJLi4EEEEEEENSH_IJLi3ELi4EEEElEESR_SR_Li1ELi256ELi256ELi256ELi128ELi32ELi8ELi8ELi16ELi16ELi8ELi4ENSH_IJLi4ELi64ELi1EEEENSH_IJLi1ELi0ELi2EEEEST_Li2ELi8ELi8ELb0ELi1ESS_ST_ST_Li2ELi8ELi8ELb0ELi1ELi1ELi1ENSH_IJLi1ELi32ELi1ELi8EEEELi4EEEDF16_DF16_S4_S4_S4_NS6_INS7_IJSD_SF_SF_NS_7UnMergeINS7_IJiNSA_IiLi8EEEEEELb0EEESF_EEENS7_IJSI_SJ_SK_SO_SN_EEENS7_IJSM_SN_SO_NSH_IJLi5ELi6EEEENSH_IJLi7EEEEEEENSH_IJLi5ELi7ELi6EEEElEES16_NS6_INS7_IJSD_SF_SF_NSW_INS7_IJiNSA_IiLi256EEEEEELb0EEENSW_INS7_IJiNSA_IiLi128EEEEEELb0EEEEEENS7_IJSI_SJ_SK_SN_SO_EEENS7_IJSM_SN_SO_S12_NSH_IJLi7ELi8EEEEEEENSH_IJLi5ELi6ELi7ELi8EEEElEENS_13TensorAdaptorINS7_IJNSW_ISC_Lb0EEES1K_NS_23Merge_v2_magic_divisionINS7_IJiiSB_SB_EEEEEEEENS7_IJSI_SJ_NSH_IJLi2ELi3ELi4ELi5EEEEEEENS7_IJNSH_IJLi2ELi4EEEENSH_IJLi3ELi5EEEENSH_IJLi6EEEEEEENSH_IJLi0ELi1EEEES1T_EELb0EEEvPKT0_S1Z_PT1_T2_T3_T4_T5_T6_T7_T8_,"axG",@progbits,_ZN2ck37kernel_gemm_xdl_waveletmodel_cshuffleINS_53GridwiseGemm_k0mk1_k0nk1_mn_xdl_waveletmodel_cshuffleIDF16_fDF16_DF16_NS_16tensor_operation12element_wise11PassThroughES4_S4_LNS_25InMemoryDataOperationEnumE0ENS_16TensorDescriptorINS_5TupleIJNS_5EmbedINS7_IJiiEEENS7_IJiNS_17integral_constantIiLi1EEEEEELb0EEENS_11PassThroughIiEESF_EEENS7_IJNS_8SequenceIJLi0EEEENSH_IJLi1EEEENSH_IJLi2EEEEEEENS7_IJNSH_IJLi1ELi2EEEENSH_IJLi3EEEENSH_IJLi4EEEEEEENSH_IJLi3ELi4EEEElEESR_SR_Li1ELi256ELi256ELi256ELi128ELi32ELi8ELi8ELi16ELi16ELi8ELi4ENSH_IJLi4ELi64ELi1EEEENSH_IJLi1ELi0ELi2EEEEST_Li2ELi8ELi8ELb0ELi1ESS_ST_ST_Li2ELi8ELi8ELb0ELi1ELi1ELi1ENSH_IJLi1ELi32ELi1ELi8EEEELi4EEEDF16_DF16_S4_S4_S4_NS6_INS7_IJSD_SF_SF_NS_7UnMergeINS7_IJiNSA_IiLi8EEEEEELb0EEESF_EEENS7_IJSI_SJ_SK_SO_SN_EEENS7_IJSM_SN_SO_NSH_IJLi5ELi6EEEENSH_IJLi7EEEEEEENSH_IJLi5ELi7ELi6EEEElEES16_NS6_INS7_IJSD_SF_SF_NSW_INS7_IJiNSA_IiLi256EEEEEELb0EEENSW_INS7_IJiNSA_IiLi128EEEEEELb0EEEEEENS7_IJSI_SJ_SK_SN_SO_EEENS7_IJSM_SN_SO_S12_NSH_IJLi7ELi8EEEEEEENSH_IJLi5ELi6ELi7ELi8EEEElEENS_13TensorAdaptorINS7_IJNSW_ISC_Lb0EEES1K_NS_23Merge_v2_magic_divisionINS7_IJiiSB_SB_EEEEEEEENS7_IJSI_SJ_NSH_IJLi2ELi3ELi4ELi5EEEEEEENS7_IJNSH_IJLi2ELi4EEEENSH_IJLi3ELi5EEEENSH_IJLi6EEEEEEENSH_IJLi0ELi1EEEES1T_EELb0EEEvPKT0_S1Z_PT1_T2_T3_T4_T5_T6_T7_T8_,comdat
.Lfunc_end2:
	.size	_ZN2ck37kernel_gemm_xdl_waveletmodel_cshuffleINS_53GridwiseGemm_k0mk1_k0nk1_mn_xdl_waveletmodel_cshuffleIDF16_fDF16_DF16_NS_16tensor_operation12element_wise11PassThroughES4_S4_LNS_25InMemoryDataOperationEnumE0ENS_16TensorDescriptorINS_5TupleIJNS_5EmbedINS7_IJiiEEENS7_IJiNS_17integral_constantIiLi1EEEEEELb0EEENS_11PassThroughIiEESF_EEENS7_IJNS_8SequenceIJLi0EEEENSH_IJLi1EEEENSH_IJLi2EEEEEEENS7_IJNSH_IJLi1ELi2EEEENSH_IJLi3EEEENSH_IJLi4EEEEEEENSH_IJLi3ELi4EEEElEESR_SR_Li1ELi256ELi256ELi256ELi128ELi32ELi8ELi8ELi16ELi16ELi8ELi4ENSH_IJLi4ELi64ELi1EEEENSH_IJLi1ELi0ELi2EEEEST_Li2ELi8ELi8ELb0ELi1ESS_ST_ST_Li2ELi8ELi8ELb0ELi1ELi1ELi1ENSH_IJLi1ELi32ELi1ELi8EEEELi4EEEDF16_DF16_S4_S4_S4_NS6_INS7_IJSD_SF_SF_NS_7UnMergeINS7_IJiNSA_IiLi8EEEEEELb0EEESF_EEENS7_IJSI_SJ_SK_SO_SN_EEENS7_IJSM_SN_SO_NSH_IJLi5ELi6EEEENSH_IJLi7EEEEEEENSH_IJLi5ELi7ELi6EEEElEES16_NS6_INS7_IJSD_SF_SF_NSW_INS7_IJiNSA_IiLi256EEEEEELb0EEENSW_INS7_IJiNSA_IiLi128EEEEEELb0EEEEEENS7_IJSI_SJ_SK_SN_SO_EEENS7_IJSM_SN_SO_S12_NSH_IJLi7ELi8EEEEEEENSH_IJLi5ELi6ELi7ELi8EEEElEENS_13TensorAdaptorINS7_IJNSW_ISC_Lb0EEES1K_NS_23Merge_v2_magic_divisionINS7_IJiiSB_SB_EEEEEEEENS7_IJSI_SJ_NSH_IJLi2ELi3ELi4ELi5EEEEEEENS7_IJNSH_IJLi2ELi4EEEENSH_IJLi3ELi5EEEENSH_IJLi6EEEEEEENSH_IJLi0ELi1EEEES1T_EELb0EEEvPKT0_S1Z_PT1_T2_T3_T4_T5_T6_T7_T8_, .Lfunc_end2-_ZN2ck37kernel_gemm_xdl_waveletmodel_cshuffleINS_53GridwiseGemm_k0mk1_k0nk1_mn_xdl_waveletmodel_cshuffleIDF16_fDF16_DF16_NS_16tensor_operation12element_wise11PassThroughES4_S4_LNS_25InMemoryDataOperationEnumE0ENS_16TensorDescriptorINS_5TupleIJNS_5EmbedINS7_IJiiEEENS7_IJiNS_17integral_constantIiLi1EEEEEELb0EEENS_11PassThroughIiEESF_EEENS7_IJNS_8SequenceIJLi0EEEENSH_IJLi1EEEENSH_IJLi2EEEEEEENS7_IJNSH_IJLi1ELi2EEEENSH_IJLi3EEEENSH_IJLi4EEEEEEENSH_IJLi3ELi4EEEElEESR_SR_Li1ELi256ELi256ELi256ELi128ELi32ELi8ELi8ELi16ELi16ELi8ELi4ENSH_IJLi4ELi64ELi1EEEENSH_IJLi1ELi0ELi2EEEEST_Li2ELi8ELi8ELb0ELi1ESS_ST_ST_Li2ELi8ELi8ELb0ELi1ELi1ELi1ENSH_IJLi1ELi32ELi1ELi8EEEELi4EEEDF16_DF16_S4_S4_S4_NS6_INS7_IJSD_SF_SF_NS_7UnMergeINS7_IJiNSA_IiLi8EEEEEELb0EEESF_EEENS7_IJSI_SJ_SK_SO_SN_EEENS7_IJSM_SN_SO_NSH_IJLi5ELi6EEEENSH_IJLi7EEEEEEENSH_IJLi5ELi7ELi6EEEElEES16_NS6_INS7_IJSD_SF_SF_NSW_INS7_IJiNSA_IiLi256EEEEEELb0EEENSW_INS7_IJiNSA_IiLi128EEEEEELb0EEEEEENS7_IJSI_SJ_SK_SN_SO_EEENS7_IJSM_SN_SO_S12_NSH_IJLi7ELi8EEEEEEENSH_IJLi5ELi6ELi7ELi8EEEElEENS_13TensorAdaptorINS7_IJNSW_ISC_Lb0EEES1K_NS_23Merge_v2_magic_divisionINS7_IJiiSB_SB_EEEEEEEENS7_IJSI_SJ_NSH_IJLi2ELi3ELi4ELi5EEEEEEENS7_IJNSH_IJLi2ELi4EEEENSH_IJLi3ELi5EEEENSH_IJLi6EEEEEEENSH_IJLi0ELi1EEEES1T_EELb0EEEvPKT0_S1Z_PT1_T2_T3_T4_T5_T6_T7_T8_
                                        ; -- End function
	.set _ZN2ck37kernel_gemm_xdl_waveletmodel_cshuffleINS_53GridwiseGemm_k0mk1_k0nk1_mn_xdl_waveletmodel_cshuffleIDF16_fDF16_DF16_NS_16tensor_operation12element_wise11PassThroughES4_S4_LNS_25InMemoryDataOperationEnumE0ENS_16TensorDescriptorINS_5TupleIJNS_5EmbedINS7_IJiiEEENS7_IJiNS_17integral_constantIiLi1EEEEEELb0EEENS_11PassThroughIiEESF_EEENS7_IJNS_8SequenceIJLi0EEEENSH_IJLi1EEEENSH_IJLi2EEEEEEENS7_IJNSH_IJLi1ELi2EEEENSH_IJLi3EEEENSH_IJLi4EEEEEEENSH_IJLi3ELi4EEEElEESR_SR_Li1ELi256ELi256ELi256ELi128ELi32ELi8ELi8ELi16ELi16ELi8ELi4ENSH_IJLi4ELi64ELi1EEEENSH_IJLi1ELi0ELi2EEEEST_Li2ELi8ELi8ELb0ELi1ESS_ST_ST_Li2ELi8ELi8ELb0ELi1ELi1ELi1ENSH_IJLi1ELi32ELi1ELi8EEEELi4EEEDF16_DF16_S4_S4_S4_NS6_INS7_IJSD_SF_SF_NS_7UnMergeINS7_IJiNSA_IiLi8EEEEEELb0EEESF_EEENS7_IJSI_SJ_SK_SO_SN_EEENS7_IJSM_SN_SO_NSH_IJLi5ELi6EEEENSH_IJLi7EEEEEEENSH_IJLi5ELi7ELi6EEEElEES16_NS6_INS7_IJSD_SF_SF_NSW_INS7_IJiNSA_IiLi256EEEEEELb0EEENSW_INS7_IJiNSA_IiLi128EEEEEELb0EEEEEENS7_IJSI_SJ_SK_SN_SO_EEENS7_IJSM_SN_SO_S12_NSH_IJLi7ELi8EEEEEEENSH_IJLi5ELi6ELi7ELi8EEEElEENS_13TensorAdaptorINS7_IJNSW_ISC_Lb0EEES1K_NS_23Merge_v2_magic_divisionINS7_IJiiSB_SB_EEEEEEEENS7_IJSI_SJ_NSH_IJLi2ELi3ELi4ELi5EEEEEEENS7_IJNSH_IJLi2ELi4EEEENSH_IJLi3ELi5EEEENSH_IJLi6EEEEEEENSH_IJLi0ELi1EEEES1T_EELb0EEEvPKT0_S1Z_PT1_T2_T3_T4_T5_T6_T7_T8_.num_vgpr, 60
	.set _ZN2ck37kernel_gemm_xdl_waveletmodel_cshuffleINS_53GridwiseGemm_k0mk1_k0nk1_mn_xdl_waveletmodel_cshuffleIDF16_fDF16_DF16_NS_16tensor_operation12element_wise11PassThroughES4_S4_LNS_25InMemoryDataOperationEnumE0ENS_16TensorDescriptorINS_5TupleIJNS_5EmbedINS7_IJiiEEENS7_IJiNS_17integral_constantIiLi1EEEEEELb0EEENS_11PassThroughIiEESF_EEENS7_IJNS_8SequenceIJLi0EEEENSH_IJLi1EEEENSH_IJLi2EEEEEEENS7_IJNSH_IJLi1ELi2EEEENSH_IJLi3EEEENSH_IJLi4EEEEEEENSH_IJLi3ELi4EEEElEESR_SR_Li1ELi256ELi256ELi256ELi128ELi32ELi8ELi8ELi16ELi16ELi8ELi4ENSH_IJLi4ELi64ELi1EEEENSH_IJLi1ELi0ELi2EEEEST_Li2ELi8ELi8ELb0ELi1ESS_ST_ST_Li2ELi8ELi8ELb0ELi1ELi1ELi1ENSH_IJLi1ELi32ELi1ELi8EEEELi4EEEDF16_DF16_S4_S4_S4_NS6_INS7_IJSD_SF_SF_NS_7UnMergeINS7_IJiNSA_IiLi8EEEEEELb0EEESF_EEENS7_IJSI_SJ_SK_SO_SN_EEENS7_IJSM_SN_SO_NSH_IJLi5ELi6EEEENSH_IJLi7EEEEEEENSH_IJLi5ELi7ELi6EEEElEES16_NS6_INS7_IJSD_SF_SF_NSW_INS7_IJiNSA_IiLi256EEEEEELb0EEENSW_INS7_IJiNSA_IiLi128EEEEEELb0EEEEEENS7_IJSI_SJ_SK_SN_SO_EEENS7_IJSM_SN_SO_S12_NSH_IJLi7ELi8EEEEEEENSH_IJLi5ELi6ELi7ELi8EEEElEENS_13TensorAdaptorINS7_IJNSW_ISC_Lb0EEES1K_NS_23Merge_v2_magic_divisionINS7_IJiiSB_SB_EEEEEEEENS7_IJSI_SJ_NSH_IJLi2ELi3ELi4ELi5EEEEEEENS7_IJNSH_IJLi2ELi4EEEENSH_IJLi3ELi5EEEENSH_IJLi6EEEEEEENSH_IJLi0ELi1EEEES1T_EELb0EEEvPKT0_S1Z_PT1_T2_T3_T4_T5_T6_T7_T8_.num_agpr, 0
	.set _ZN2ck37kernel_gemm_xdl_waveletmodel_cshuffleINS_53GridwiseGemm_k0mk1_k0nk1_mn_xdl_waveletmodel_cshuffleIDF16_fDF16_DF16_NS_16tensor_operation12element_wise11PassThroughES4_S4_LNS_25InMemoryDataOperationEnumE0ENS_16TensorDescriptorINS_5TupleIJNS_5EmbedINS7_IJiiEEENS7_IJiNS_17integral_constantIiLi1EEEEEELb0EEENS_11PassThroughIiEESF_EEENS7_IJNS_8SequenceIJLi0EEEENSH_IJLi1EEEENSH_IJLi2EEEEEEENS7_IJNSH_IJLi1ELi2EEEENSH_IJLi3EEEENSH_IJLi4EEEEEEENSH_IJLi3ELi4EEEElEESR_SR_Li1ELi256ELi256ELi256ELi128ELi32ELi8ELi8ELi16ELi16ELi8ELi4ENSH_IJLi4ELi64ELi1EEEENSH_IJLi1ELi0ELi2EEEEST_Li2ELi8ELi8ELb0ELi1ESS_ST_ST_Li2ELi8ELi8ELb0ELi1ELi1ELi1ENSH_IJLi1ELi32ELi1ELi8EEEELi4EEEDF16_DF16_S4_S4_S4_NS6_INS7_IJSD_SF_SF_NS_7UnMergeINS7_IJiNSA_IiLi8EEEEEELb0EEESF_EEENS7_IJSI_SJ_SK_SO_SN_EEENS7_IJSM_SN_SO_NSH_IJLi5ELi6EEEENSH_IJLi7EEEEEEENSH_IJLi5ELi7ELi6EEEElEES16_NS6_INS7_IJSD_SF_SF_NSW_INS7_IJiNSA_IiLi256EEEEEELb0EEENSW_INS7_IJiNSA_IiLi128EEEEEELb0EEEEEENS7_IJSI_SJ_SK_SN_SO_EEENS7_IJSM_SN_SO_S12_NSH_IJLi7ELi8EEEEEEENSH_IJLi5ELi6ELi7ELi8EEEElEENS_13TensorAdaptorINS7_IJNSW_ISC_Lb0EEES1K_NS_23Merge_v2_magic_divisionINS7_IJiiSB_SB_EEEEEEEENS7_IJSI_SJ_NSH_IJLi2ELi3ELi4ELi5EEEEEEENS7_IJNSH_IJLi2ELi4EEEENSH_IJLi3ELi5EEEENSH_IJLi6EEEEEEENSH_IJLi0ELi1EEEES1T_EELb0EEEvPKT0_S1Z_PT1_T2_T3_T4_T5_T6_T7_T8_.numbered_sgpr, 13
	.set _ZN2ck37kernel_gemm_xdl_waveletmodel_cshuffleINS_53GridwiseGemm_k0mk1_k0nk1_mn_xdl_waveletmodel_cshuffleIDF16_fDF16_DF16_NS_16tensor_operation12element_wise11PassThroughES4_S4_LNS_25InMemoryDataOperationEnumE0ENS_16TensorDescriptorINS_5TupleIJNS_5EmbedINS7_IJiiEEENS7_IJiNS_17integral_constantIiLi1EEEEEELb0EEENS_11PassThroughIiEESF_EEENS7_IJNS_8SequenceIJLi0EEEENSH_IJLi1EEEENSH_IJLi2EEEEEEENS7_IJNSH_IJLi1ELi2EEEENSH_IJLi3EEEENSH_IJLi4EEEEEEENSH_IJLi3ELi4EEEElEESR_SR_Li1ELi256ELi256ELi256ELi128ELi32ELi8ELi8ELi16ELi16ELi8ELi4ENSH_IJLi4ELi64ELi1EEEENSH_IJLi1ELi0ELi2EEEEST_Li2ELi8ELi8ELb0ELi1ESS_ST_ST_Li2ELi8ELi8ELb0ELi1ELi1ELi1ENSH_IJLi1ELi32ELi1ELi8EEEELi4EEEDF16_DF16_S4_S4_S4_NS6_INS7_IJSD_SF_SF_NS_7UnMergeINS7_IJiNSA_IiLi8EEEEEELb0EEESF_EEENS7_IJSI_SJ_SK_SO_SN_EEENS7_IJSM_SN_SO_NSH_IJLi5ELi6EEEENSH_IJLi7EEEEEEENSH_IJLi5ELi7ELi6EEEElEES16_NS6_INS7_IJSD_SF_SF_NSW_INS7_IJiNSA_IiLi256EEEEEELb0EEENSW_INS7_IJiNSA_IiLi128EEEEEELb0EEEEEENS7_IJSI_SJ_SK_SN_SO_EEENS7_IJSM_SN_SO_S12_NSH_IJLi7ELi8EEEEEEENSH_IJLi5ELi6ELi7ELi8EEEElEENS_13TensorAdaptorINS7_IJNSW_ISC_Lb0EEES1K_NS_23Merge_v2_magic_divisionINS7_IJiiSB_SB_EEEEEEEENS7_IJSI_SJ_NSH_IJLi2ELi3ELi4ELi5EEEEEEENS7_IJNSH_IJLi2ELi4EEEENSH_IJLi3ELi5EEEENSH_IJLi6EEEEEEENSH_IJLi0ELi1EEEES1T_EELb0EEEvPKT0_S1Z_PT1_T2_T3_T4_T5_T6_T7_T8_.num_named_barrier, 0
	.set _ZN2ck37kernel_gemm_xdl_waveletmodel_cshuffleINS_53GridwiseGemm_k0mk1_k0nk1_mn_xdl_waveletmodel_cshuffleIDF16_fDF16_DF16_NS_16tensor_operation12element_wise11PassThroughES4_S4_LNS_25InMemoryDataOperationEnumE0ENS_16TensorDescriptorINS_5TupleIJNS_5EmbedINS7_IJiiEEENS7_IJiNS_17integral_constantIiLi1EEEEEELb0EEENS_11PassThroughIiEESF_EEENS7_IJNS_8SequenceIJLi0EEEENSH_IJLi1EEEENSH_IJLi2EEEEEEENS7_IJNSH_IJLi1ELi2EEEENSH_IJLi3EEEENSH_IJLi4EEEEEEENSH_IJLi3ELi4EEEElEESR_SR_Li1ELi256ELi256ELi256ELi128ELi32ELi8ELi8ELi16ELi16ELi8ELi4ENSH_IJLi4ELi64ELi1EEEENSH_IJLi1ELi0ELi2EEEEST_Li2ELi8ELi8ELb0ELi1ESS_ST_ST_Li2ELi8ELi8ELb0ELi1ELi1ELi1ENSH_IJLi1ELi32ELi1ELi8EEEELi4EEEDF16_DF16_S4_S4_S4_NS6_INS7_IJSD_SF_SF_NS_7UnMergeINS7_IJiNSA_IiLi8EEEEEELb0EEESF_EEENS7_IJSI_SJ_SK_SO_SN_EEENS7_IJSM_SN_SO_NSH_IJLi5ELi6EEEENSH_IJLi7EEEEEEENSH_IJLi5ELi7ELi6EEEElEES16_NS6_INS7_IJSD_SF_SF_NSW_INS7_IJiNSA_IiLi256EEEEEELb0EEENSW_INS7_IJiNSA_IiLi128EEEEEELb0EEEEEENS7_IJSI_SJ_SK_SN_SO_EEENS7_IJSM_SN_SO_S12_NSH_IJLi7ELi8EEEEEEENSH_IJLi5ELi6ELi7ELi8EEEElEENS_13TensorAdaptorINS7_IJNSW_ISC_Lb0EEES1K_NS_23Merge_v2_magic_divisionINS7_IJiiSB_SB_EEEEEEEENS7_IJSI_SJ_NSH_IJLi2ELi3ELi4ELi5EEEEEEENS7_IJNSH_IJLi2ELi4EEEENSH_IJLi3ELi5EEEENSH_IJLi6EEEEEEENSH_IJLi0ELi1EEEES1T_EELb0EEEvPKT0_S1Z_PT1_T2_T3_T4_T5_T6_T7_T8_.private_seg_size, 0
	.set _ZN2ck37kernel_gemm_xdl_waveletmodel_cshuffleINS_53GridwiseGemm_k0mk1_k0nk1_mn_xdl_waveletmodel_cshuffleIDF16_fDF16_DF16_NS_16tensor_operation12element_wise11PassThroughES4_S4_LNS_25InMemoryDataOperationEnumE0ENS_16TensorDescriptorINS_5TupleIJNS_5EmbedINS7_IJiiEEENS7_IJiNS_17integral_constantIiLi1EEEEEELb0EEENS_11PassThroughIiEESF_EEENS7_IJNS_8SequenceIJLi0EEEENSH_IJLi1EEEENSH_IJLi2EEEEEEENS7_IJNSH_IJLi1ELi2EEEENSH_IJLi3EEEENSH_IJLi4EEEEEEENSH_IJLi3ELi4EEEElEESR_SR_Li1ELi256ELi256ELi256ELi128ELi32ELi8ELi8ELi16ELi16ELi8ELi4ENSH_IJLi4ELi64ELi1EEEENSH_IJLi1ELi0ELi2EEEEST_Li2ELi8ELi8ELb0ELi1ESS_ST_ST_Li2ELi8ELi8ELb0ELi1ELi1ELi1ENSH_IJLi1ELi32ELi1ELi8EEEELi4EEEDF16_DF16_S4_S4_S4_NS6_INS7_IJSD_SF_SF_NS_7UnMergeINS7_IJiNSA_IiLi8EEEEEELb0EEESF_EEENS7_IJSI_SJ_SK_SO_SN_EEENS7_IJSM_SN_SO_NSH_IJLi5ELi6EEEENSH_IJLi7EEEEEEENSH_IJLi5ELi7ELi6EEEElEES16_NS6_INS7_IJSD_SF_SF_NSW_INS7_IJiNSA_IiLi256EEEEEELb0EEENSW_INS7_IJiNSA_IiLi128EEEEEELb0EEEEEENS7_IJSI_SJ_SK_SN_SO_EEENS7_IJSM_SN_SO_S12_NSH_IJLi7ELi8EEEEEEENSH_IJLi5ELi6ELi7ELi8EEEElEENS_13TensorAdaptorINS7_IJNSW_ISC_Lb0EEES1K_NS_23Merge_v2_magic_divisionINS7_IJiiSB_SB_EEEEEEEENS7_IJSI_SJ_NSH_IJLi2ELi3ELi4ELi5EEEEEEENS7_IJNSH_IJLi2ELi4EEEENSH_IJLi3ELi5EEEENSH_IJLi6EEEEEEENSH_IJLi0ELi1EEEES1T_EELb0EEEvPKT0_S1Z_PT1_T2_T3_T4_T5_T6_T7_T8_.uses_vcc, 1
	.set _ZN2ck37kernel_gemm_xdl_waveletmodel_cshuffleINS_53GridwiseGemm_k0mk1_k0nk1_mn_xdl_waveletmodel_cshuffleIDF16_fDF16_DF16_NS_16tensor_operation12element_wise11PassThroughES4_S4_LNS_25InMemoryDataOperationEnumE0ENS_16TensorDescriptorINS_5TupleIJNS_5EmbedINS7_IJiiEEENS7_IJiNS_17integral_constantIiLi1EEEEEELb0EEENS_11PassThroughIiEESF_EEENS7_IJNS_8SequenceIJLi0EEEENSH_IJLi1EEEENSH_IJLi2EEEEEEENS7_IJNSH_IJLi1ELi2EEEENSH_IJLi3EEEENSH_IJLi4EEEEEEENSH_IJLi3ELi4EEEElEESR_SR_Li1ELi256ELi256ELi256ELi128ELi32ELi8ELi8ELi16ELi16ELi8ELi4ENSH_IJLi4ELi64ELi1EEEENSH_IJLi1ELi0ELi2EEEEST_Li2ELi8ELi8ELb0ELi1ESS_ST_ST_Li2ELi8ELi8ELb0ELi1ELi1ELi1ENSH_IJLi1ELi32ELi1ELi8EEEELi4EEEDF16_DF16_S4_S4_S4_NS6_INS7_IJSD_SF_SF_NS_7UnMergeINS7_IJiNSA_IiLi8EEEEEELb0EEESF_EEENS7_IJSI_SJ_SK_SO_SN_EEENS7_IJSM_SN_SO_NSH_IJLi5ELi6EEEENSH_IJLi7EEEEEEENSH_IJLi5ELi7ELi6EEEElEES16_NS6_INS7_IJSD_SF_SF_NSW_INS7_IJiNSA_IiLi256EEEEEELb0EEENSW_INS7_IJiNSA_IiLi128EEEEEELb0EEEEEENS7_IJSI_SJ_SK_SN_SO_EEENS7_IJSM_SN_SO_S12_NSH_IJLi7ELi8EEEEEEENSH_IJLi5ELi6ELi7ELi8EEEElEENS_13TensorAdaptorINS7_IJNSW_ISC_Lb0EEES1K_NS_23Merge_v2_magic_divisionINS7_IJiiSB_SB_EEEEEEEENS7_IJSI_SJ_NSH_IJLi2ELi3ELi4ELi5EEEEEEENS7_IJNSH_IJLi2ELi4EEEENSH_IJLi3ELi5EEEENSH_IJLi6EEEEEEENSH_IJLi0ELi1EEEES1T_EELb0EEEvPKT0_S1Z_PT1_T2_T3_T4_T5_T6_T7_T8_.uses_flat_scratch, 0
	.set _ZN2ck37kernel_gemm_xdl_waveletmodel_cshuffleINS_53GridwiseGemm_k0mk1_k0nk1_mn_xdl_waveletmodel_cshuffleIDF16_fDF16_DF16_NS_16tensor_operation12element_wise11PassThroughES4_S4_LNS_25InMemoryDataOperationEnumE0ENS_16TensorDescriptorINS_5TupleIJNS_5EmbedINS7_IJiiEEENS7_IJiNS_17integral_constantIiLi1EEEEEELb0EEENS_11PassThroughIiEESF_EEENS7_IJNS_8SequenceIJLi0EEEENSH_IJLi1EEEENSH_IJLi2EEEEEEENS7_IJNSH_IJLi1ELi2EEEENSH_IJLi3EEEENSH_IJLi4EEEEEEENSH_IJLi3ELi4EEEElEESR_SR_Li1ELi256ELi256ELi256ELi128ELi32ELi8ELi8ELi16ELi16ELi8ELi4ENSH_IJLi4ELi64ELi1EEEENSH_IJLi1ELi0ELi2EEEEST_Li2ELi8ELi8ELb0ELi1ESS_ST_ST_Li2ELi8ELi8ELb0ELi1ELi1ELi1ENSH_IJLi1ELi32ELi1ELi8EEEELi4EEEDF16_DF16_S4_S4_S4_NS6_INS7_IJSD_SF_SF_NS_7UnMergeINS7_IJiNSA_IiLi8EEEEEELb0EEESF_EEENS7_IJSI_SJ_SK_SO_SN_EEENS7_IJSM_SN_SO_NSH_IJLi5ELi6EEEENSH_IJLi7EEEEEEENSH_IJLi5ELi7ELi6EEEElEES16_NS6_INS7_IJSD_SF_SF_NSW_INS7_IJiNSA_IiLi256EEEEEELb0EEENSW_INS7_IJiNSA_IiLi128EEEEEELb0EEEEEENS7_IJSI_SJ_SK_SN_SO_EEENS7_IJSM_SN_SO_S12_NSH_IJLi7ELi8EEEEEEENSH_IJLi5ELi6ELi7ELi8EEEElEENS_13TensorAdaptorINS7_IJNSW_ISC_Lb0EEES1K_NS_23Merge_v2_magic_divisionINS7_IJiiSB_SB_EEEEEEEENS7_IJSI_SJ_NSH_IJLi2ELi3ELi4ELi5EEEEEEENS7_IJNSH_IJLi2ELi4EEEENSH_IJLi3ELi5EEEENSH_IJLi6EEEEEEENSH_IJLi0ELi1EEEES1T_EELb0EEEvPKT0_S1Z_PT1_T2_T3_T4_T5_T6_T7_T8_.has_dyn_sized_stack, 0
	.set _ZN2ck37kernel_gemm_xdl_waveletmodel_cshuffleINS_53GridwiseGemm_k0mk1_k0nk1_mn_xdl_waveletmodel_cshuffleIDF16_fDF16_DF16_NS_16tensor_operation12element_wise11PassThroughES4_S4_LNS_25InMemoryDataOperationEnumE0ENS_16TensorDescriptorINS_5TupleIJNS_5EmbedINS7_IJiiEEENS7_IJiNS_17integral_constantIiLi1EEEEEELb0EEENS_11PassThroughIiEESF_EEENS7_IJNS_8SequenceIJLi0EEEENSH_IJLi1EEEENSH_IJLi2EEEEEEENS7_IJNSH_IJLi1ELi2EEEENSH_IJLi3EEEENSH_IJLi4EEEEEEENSH_IJLi3ELi4EEEElEESR_SR_Li1ELi256ELi256ELi256ELi128ELi32ELi8ELi8ELi16ELi16ELi8ELi4ENSH_IJLi4ELi64ELi1EEEENSH_IJLi1ELi0ELi2EEEEST_Li2ELi8ELi8ELb0ELi1ESS_ST_ST_Li2ELi8ELi8ELb0ELi1ELi1ELi1ENSH_IJLi1ELi32ELi1ELi8EEEELi4EEEDF16_DF16_S4_S4_S4_NS6_INS7_IJSD_SF_SF_NS_7UnMergeINS7_IJiNSA_IiLi8EEEEEELb0EEESF_EEENS7_IJSI_SJ_SK_SO_SN_EEENS7_IJSM_SN_SO_NSH_IJLi5ELi6EEEENSH_IJLi7EEEEEEENSH_IJLi5ELi7ELi6EEEElEES16_NS6_INS7_IJSD_SF_SF_NSW_INS7_IJiNSA_IiLi256EEEEEELb0EEENSW_INS7_IJiNSA_IiLi128EEEEEELb0EEEEEENS7_IJSI_SJ_SK_SN_SO_EEENS7_IJSM_SN_SO_S12_NSH_IJLi7ELi8EEEEEEENSH_IJLi5ELi6ELi7ELi8EEEElEENS_13TensorAdaptorINS7_IJNSW_ISC_Lb0EEES1K_NS_23Merge_v2_magic_divisionINS7_IJiiSB_SB_EEEEEEEENS7_IJSI_SJ_NSH_IJLi2ELi3ELi4ELi5EEEEEEENS7_IJNSH_IJLi2ELi4EEEENSH_IJLi3ELi5EEEENSH_IJLi6EEEEEEENSH_IJLi0ELi1EEEES1T_EELb0EEEvPKT0_S1Z_PT1_T2_T3_T4_T5_T6_T7_T8_.has_recursion, 0
	.set _ZN2ck37kernel_gemm_xdl_waveletmodel_cshuffleINS_53GridwiseGemm_k0mk1_k0nk1_mn_xdl_waveletmodel_cshuffleIDF16_fDF16_DF16_NS_16tensor_operation12element_wise11PassThroughES4_S4_LNS_25InMemoryDataOperationEnumE0ENS_16TensorDescriptorINS_5TupleIJNS_5EmbedINS7_IJiiEEENS7_IJiNS_17integral_constantIiLi1EEEEEELb0EEENS_11PassThroughIiEESF_EEENS7_IJNS_8SequenceIJLi0EEEENSH_IJLi1EEEENSH_IJLi2EEEEEEENS7_IJNSH_IJLi1ELi2EEEENSH_IJLi3EEEENSH_IJLi4EEEEEEENSH_IJLi3ELi4EEEElEESR_SR_Li1ELi256ELi256ELi256ELi128ELi32ELi8ELi8ELi16ELi16ELi8ELi4ENSH_IJLi4ELi64ELi1EEEENSH_IJLi1ELi0ELi2EEEEST_Li2ELi8ELi8ELb0ELi1ESS_ST_ST_Li2ELi8ELi8ELb0ELi1ELi1ELi1ENSH_IJLi1ELi32ELi1ELi8EEEELi4EEEDF16_DF16_S4_S4_S4_NS6_INS7_IJSD_SF_SF_NS_7UnMergeINS7_IJiNSA_IiLi8EEEEEELb0EEESF_EEENS7_IJSI_SJ_SK_SO_SN_EEENS7_IJSM_SN_SO_NSH_IJLi5ELi6EEEENSH_IJLi7EEEEEEENSH_IJLi5ELi7ELi6EEEElEES16_NS6_INS7_IJSD_SF_SF_NSW_INS7_IJiNSA_IiLi256EEEEEELb0EEENSW_INS7_IJiNSA_IiLi128EEEEEELb0EEEEEENS7_IJSI_SJ_SK_SN_SO_EEENS7_IJSM_SN_SO_S12_NSH_IJLi7ELi8EEEEEEENSH_IJLi5ELi6ELi7ELi8EEEElEENS_13TensorAdaptorINS7_IJNSW_ISC_Lb0EEES1K_NS_23Merge_v2_magic_divisionINS7_IJiiSB_SB_EEEEEEEENS7_IJSI_SJ_NSH_IJLi2ELi3ELi4ELi5EEEEEEENS7_IJNSH_IJLi2ELi4EEEENSH_IJLi3ELi5EEEENSH_IJLi6EEEEEEENSH_IJLi0ELi1EEEES1T_EELb0EEEvPKT0_S1Z_PT1_T2_T3_T4_T5_T6_T7_T8_.has_indirect_call, 0
	.section	.AMDGPU.csdata,"",@progbits
; Kernel info:
; codeLenInByte = 3996
; TotalNumSgprs: 19
; NumVgprs: 60
; NumAgprs: 0
; TotalNumVgprs: 60
; ScratchSize: 0
; MemoryBound: 0
; FloatMode: 240
; IeeeMode: 1
; LDSByteSize: 24672 bytes/workgroup (compile time only)
; SGPRBlocks: 2
; VGPRBlocks: 7
; NumSGPRsForWavesPerEU: 19
; NumVGPRsForWavesPerEU: 60
; AccumOffset: 60
; Occupancy: 8
; WaveLimiterHint : 0
; COMPUTE_PGM_RSRC2:SCRATCH_EN: 0
; COMPUTE_PGM_RSRC2:USER_SGPR: 2
; COMPUTE_PGM_RSRC2:TRAP_HANDLER: 0
; COMPUTE_PGM_RSRC2:TGID_X_EN: 1
; COMPUTE_PGM_RSRC2:TGID_Y_EN: 0
; COMPUTE_PGM_RSRC2:TGID_Z_EN: 0
; COMPUTE_PGM_RSRC2:TIDIG_COMP_CNT: 0
; COMPUTE_PGM_RSRC3_GFX90A:ACCUM_OFFSET: 14
; COMPUTE_PGM_RSRC3_GFX90A:TG_SPLIT: 0
	.section	.text._ZN2ck37kernel_gemm_xdl_waveletmodel_cshuffleINS_53GridwiseGemm_k0mk1_k0nk1_mn_xdl_waveletmodel_cshuffleIDF16_fDF16_DF16_NS_16tensor_operation12element_wise11PassThroughES4_S4_LNS_25InMemoryDataOperationEnumE0ENS_16TensorDescriptorINS_5TupleIJNS_5EmbedINS7_IJiiEEENS7_IJiNS_17integral_constantIiLi1EEEEEELb0EEENS_11PassThroughIiEESF_EEENS7_IJNS_8SequenceIJLi0EEEENSH_IJLi1EEEENSH_IJLi2EEEEEEENS7_IJNSH_IJLi1ELi2EEEENSH_IJLi3EEEENSH_IJLi4EEEEEEENSH_IJLi3ELi4EEEElEESR_SR_Li1ELi256ELi256ELi256ELi128ELi32ELi8ELi8ELi16ELi16ELi8ELi2ENSH_IJLi4ELi64ELi1EEEENSH_IJLi1ELi0ELi2EEEEST_Li2ELi8ELi8ELb0ELi1ESS_ST_ST_Li2ELi8ELi8ELb0ELi1ELi1ELi1ENSH_IJLi1ELi32ELi1ELi8EEEELi4EEEDF16_DF16_S4_S4_S4_NS6_INS7_IJSD_SF_SF_NS_7UnMergeINS7_IJiNSA_IiLi8EEEEEELb0EEESF_EEENS7_IJSI_SJ_SK_SO_SN_EEENS7_IJSM_SN_SO_NSH_IJLi5ELi6EEEENSH_IJLi7EEEEEEENSH_IJLi5ELi7ELi6EEEElEES16_NS6_INS7_IJSD_SF_SF_NSW_INS7_IJiNSA_IiLi256EEEEEELb0EEENSW_INS7_IJiNSA_IiLi128EEEEEELb0EEEEEENS7_IJSI_SJ_SK_SN_SO_EEENS7_IJSM_SN_SO_S12_NSH_IJLi7ELi8EEEEEEENSH_IJLi5ELi6ELi7ELi8EEEElEENS_13TensorAdaptorINS7_IJNSW_ISC_Lb0EEES1K_NS_23Merge_v2_magic_divisionINS7_IJiiSB_SB_EEEEEEEENS7_IJSI_SJ_NSH_IJLi2ELi3ELi4ELi5EEEEEEENS7_IJNSH_IJLi2ELi4EEEENSH_IJLi3ELi5EEEENSH_IJLi6EEEEEEENSH_IJLi0ELi1EEEES1T_EELb1EEEvPKT0_S1Z_PT1_T2_T3_T4_T5_T6_T7_T8_,"axG",@progbits,_ZN2ck37kernel_gemm_xdl_waveletmodel_cshuffleINS_53GridwiseGemm_k0mk1_k0nk1_mn_xdl_waveletmodel_cshuffleIDF16_fDF16_DF16_NS_16tensor_operation12element_wise11PassThroughES4_S4_LNS_25InMemoryDataOperationEnumE0ENS_16TensorDescriptorINS_5TupleIJNS_5EmbedINS7_IJiiEEENS7_IJiNS_17integral_constantIiLi1EEEEEELb0EEENS_11PassThroughIiEESF_EEENS7_IJNS_8SequenceIJLi0EEEENSH_IJLi1EEEENSH_IJLi2EEEEEEENS7_IJNSH_IJLi1ELi2EEEENSH_IJLi3EEEENSH_IJLi4EEEEEEENSH_IJLi3ELi4EEEElEESR_SR_Li1ELi256ELi256ELi256ELi128ELi32ELi8ELi8ELi16ELi16ELi8ELi2ENSH_IJLi4ELi64ELi1EEEENSH_IJLi1ELi0ELi2EEEEST_Li2ELi8ELi8ELb0ELi1ESS_ST_ST_Li2ELi8ELi8ELb0ELi1ELi1ELi1ENSH_IJLi1ELi32ELi1ELi8EEEELi4EEEDF16_DF16_S4_S4_S4_NS6_INS7_IJSD_SF_SF_NS_7UnMergeINS7_IJiNSA_IiLi8EEEEEELb0EEESF_EEENS7_IJSI_SJ_SK_SO_SN_EEENS7_IJSM_SN_SO_NSH_IJLi5ELi6EEEENSH_IJLi7EEEEEEENSH_IJLi5ELi7ELi6EEEElEES16_NS6_INS7_IJSD_SF_SF_NSW_INS7_IJiNSA_IiLi256EEEEEELb0EEENSW_INS7_IJiNSA_IiLi128EEEEEELb0EEEEEENS7_IJSI_SJ_SK_SN_SO_EEENS7_IJSM_SN_SO_S12_NSH_IJLi7ELi8EEEEEEENSH_IJLi5ELi6ELi7ELi8EEEElEENS_13TensorAdaptorINS7_IJNSW_ISC_Lb0EEES1K_NS_23Merge_v2_magic_divisionINS7_IJiiSB_SB_EEEEEEEENS7_IJSI_SJ_NSH_IJLi2ELi3ELi4ELi5EEEEEEENS7_IJNSH_IJLi2ELi4EEEENSH_IJLi3ELi5EEEENSH_IJLi6EEEEEEENSH_IJLi0ELi1EEEES1T_EELb1EEEvPKT0_S1Z_PT1_T2_T3_T4_T5_T6_T7_T8_,comdat
	.protected	_ZN2ck37kernel_gemm_xdl_waveletmodel_cshuffleINS_53GridwiseGemm_k0mk1_k0nk1_mn_xdl_waveletmodel_cshuffleIDF16_fDF16_DF16_NS_16tensor_operation12element_wise11PassThroughES4_S4_LNS_25InMemoryDataOperationEnumE0ENS_16TensorDescriptorINS_5TupleIJNS_5EmbedINS7_IJiiEEENS7_IJiNS_17integral_constantIiLi1EEEEEELb0EEENS_11PassThroughIiEESF_EEENS7_IJNS_8SequenceIJLi0EEEENSH_IJLi1EEEENSH_IJLi2EEEEEEENS7_IJNSH_IJLi1ELi2EEEENSH_IJLi3EEEENSH_IJLi4EEEEEEENSH_IJLi3ELi4EEEElEESR_SR_Li1ELi256ELi256ELi256ELi128ELi32ELi8ELi8ELi16ELi16ELi8ELi2ENSH_IJLi4ELi64ELi1EEEENSH_IJLi1ELi0ELi2EEEEST_Li2ELi8ELi8ELb0ELi1ESS_ST_ST_Li2ELi8ELi8ELb0ELi1ELi1ELi1ENSH_IJLi1ELi32ELi1ELi8EEEELi4EEEDF16_DF16_S4_S4_S4_NS6_INS7_IJSD_SF_SF_NS_7UnMergeINS7_IJiNSA_IiLi8EEEEEELb0EEESF_EEENS7_IJSI_SJ_SK_SO_SN_EEENS7_IJSM_SN_SO_NSH_IJLi5ELi6EEEENSH_IJLi7EEEEEEENSH_IJLi5ELi7ELi6EEEElEES16_NS6_INS7_IJSD_SF_SF_NSW_INS7_IJiNSA_IiLi256EEEEEELb0EEENSW_INS7_IJiNSA_IiLi128EEEEEELb0EEEEEENS7_IJSI_SJ_SK_SN_SO_EEENS7_IJSM_SN_SO_S12_NSH_IJLi7ELi8EEEEEEENSH_IJLi5ELi6ELi7ELi8EEEElEENS_13TensorAdaptorINS7_IJNSW_ISC_Lb0EEES1K_NS_23Merge_v2_magic_divisionINS7_IJiiSB_SB_EEEEEEEENS7_IJSI_SJ_NSH_IJLi2ELi3ELi4ELi5EEEEEEENS7_IJNSH_IJLi2ELi4EEEENSH_IJLi3ELi5EEEENSH_IJLi6EEEEEEENSH_IJLi0ELi1EEEES1T_EELb1EEEvPKT0_S1Z_PT1_T2_T3_T4_T5_T6_T7_T8_ ; -- Begin function _ZN2ck37kernel_gemm_xdl_waveletmodel_cshuffleINS_53GridwiseGemm_k0mk1_k0nk1_mn_xdl_waveletmodel_cshuffleIDF16_fDF16_DF16_NS_16tensor_operation12element_wise11PassThroughES4_S4_LNS_25InMemoryDataOperationEnumE0ENS_16TensorDescriptorINS_5TupleIJNS_5EmbedINS7_IJiiEEENS7_IJiNS_17integral_constantIiLi1EEEEEELb0EEENS_11PassThroughIiEESF_EEENS7_IJNS_8SequenceIJLi0EEEENSH_IJLi1EEEENSH_IJLi2EEEEEEENS7_IJNSH_IJLi1ELi2EEEENSH_IJLi3EEEENSH_IJLi4EEEEEEENSH_IJLi3ELi4EEEElEESR_SR_Li1ELi256ELi256ELi256ELi128ELi32ELi8ELi8ELi16ELi16ELi8ELi2ENSH_IJLi4ELi64ELi1EEEENSH_IJLi1ELi0ELi2EEEEST_Li2ELi8ELi8ELb0ELi1ESS_ST_ST_Li2ELi8ELi8ELb0ELi1ELi1ELi1ENSH_IJLi1ELi32ELi1ELi8EEEELi4EEEDF16_DF16_S4_S4_S4_NS6_INS7_IJSD_SF_SF_NS_7UnMergeINS7_IJiNSA_IiLi8EEEEEELb0EEESF_EEENS7_IJSI_SJ_SK_SO_SN_EEENS7_IJSM_SN_SO_NSH_IJLi5ELi6EEEENSH_IJLi7EEEEEEENSH_IJLi5ELi7ELi6EEEElEES16_NS6_INS7_IJSD_SF_SF_NSW_INS7_IJiNSA_IiLi256EEEEEELb0EEENSW_INS7_IJiNSA_IiLi128EEEEEELb0EEEEEENS7_IJSI_SJ_SK_SN_SO_EEENS7_IJSM_SN_SO_S12_NSH_IJLi7ELi8EEEEEEENSH_IJLi5ELi6ELi7ELi8EEEElEENS_13TensorAdaptorINS7_IJNSW_ISC_Lb0EEES1K_NS_23Merge_v2_magic_divisionINS7_IJiiSB_SB_EEEEEEEENS7_IJSI_SJ_NSH_IJLi2ELi3ELi4ELi5EEEEEEENS7_IJNSH_IJLi2ELi4EEEENSH_IJLi3ELi5EEEENSH_IJLi6EEEEEEENSH_IJLi0ELi1EEEES1T_EELb1EEEvPKT0_S1Z_PT1_T2_T3_T4_T5_T6_T7_T8_
	.globl	_ZN2ck37kernel_gemm_xdl_waveletmodel_cshuffleINS_53GridwiseGemm_k0mk1_k0nk1_mn_xdl_waveletmodel_cshuffleIDF16_fDF16_DF16_NS_16tensor_operation12element_wise11PassThroughES4_S4_LNS_25InMemoryDataOperationEnumE0ENS_16TensorDescriptorINS_5TupleIJNS_5EmbedINS7_IJiiEEENS7_IJiNS_17integral_constantIiLi1EEEEEELb0EEENS_11PassThroughIiEESF_EEENS7_IJNS_8SequenceIJLi0EEEENSH_IJLi1EEEENSH_IJLi2EEEEEEENS7_IJNSH_IJLi1ELi2EEEENSH_IJLi3EEEENSH_IJLi4EEEEEEENSH_IJLi3ELi4EEEElEESR_SR_Li1ELi256ELi256ELi256ELi128ELi32ELi8ELi8ELi16ELi16ELi8ELi2ENSH_IJLi4ELi64ELi1EEEENSH_IJLi1ELi0ELi2EEEEST_Li2ELi8ELi8ELb0ELi1ESS_ST_ST_Li2ELi8ELi8ELb0ELi1ELi1ELi1ENSH_IJLi1ELi32ELi1ELi8EEEELi4EEEDF16_DF16_S4_S4_S4_NS6_INS7_IJSD_SF_SF_NS_7UnMergeINS7_IJiNSA_IiLi8EEEEEELb0EEESF_EEENS7_IJSI_SJ_SK_SO_SN_EEENS7_IJSM_SN_SO_NSH_IJLi5ELi6EEEENSH_IJLi7EEEEEEENSH_IJLi5ELi7ELi6EEEElEES16_NS6_INS7_IJSD_SF_SF_NSW_INS7_IJiNSA_IiLi256EEEEEELb0EEENSW_INS7_IJiNSA_IiLi128EEEEEELb0EEEEEENS7_IJSI_SJ_SK_SN_SO_EEENS7_IJSM_SN_SO_S12_NSH_IJLi7ELi8EEEEEEENSH_IJLi5ELi6ELi7ELi8EEEElEENS_13TensorAdaptorINS7_IJNSW_ISC_Lb0EEES1K_NS_23Merge_v2_magic_divisionINS7_IJiiSB_SB_EEEEEEEENS7_IJSI_SJ_NSH_IJLi2ELi3ELi4ELi5EEEEEEENS7_IJNSH_IJLi2ELi4EEEENSH_IJLi3ELi5EEEENSH_IJLi6EEEEEEENSH_IJLi0ELi1EEEES1T_EELb1EEEvPKT0_S1Z_PT1_T2_T3_T4_T5_T6_T7_T8_
	.p2align	8
	.type	_ZN2ck37kernel_gemm_xdl_waveletmodel_cshuffleINS_53GridwiseGemm_k0mk1_k0nk1_mn_xdl_waveletmodel_cshuffleIDF16_fDF16_DF16_NS_16tensor_operation12element_wise11PassThroughES4_S4_LNS_25InMemoryDataOperationEnumE0ENS_16TensorDescriptorINS_5TupleIJNS_5EmbedINS7_IJiiEEENS7_IJiNS_17integral_constantIiLi1EEEEEELb0EEENS_11PassThroughIiEESF_EEENS7_IJNS_8SequenceIJLi0EEEENSH_IJLi1EEEENSH_IJLi2EEEEEEENS7_IJNSH_IJLi1ELi2EEEENSH_IJLi3EEEENSH_IJLi4EEEEEEENSH_IJLi3ELi4EEEElEESR_SR_Li1ELi256ELi256ELi256ELi128ELi32ELi8ELi8ELi16ELi16ELi8ELi2ENSH_IJLi4ELi64ELi1EEEENSH_IJLi1ELi0ELi2EEEEST_Li2ELi8ELi8ELb0ELi1ESS_ST_ST_Li2ELi8ELi8ELb0ELi1ELi1ELi1ENSH_IJLi1ELi32ELi1ELi8EEEELi4EEEDF16_DF16_S4_S4_S4_NS6_INS7_IJSD_SF_SF_NS_7UnMergeINS7_IJiNSA_IiLi8EEEEEELb0EEESF_EEENS7_IJSI_SJ_SK_SO_SN_EEENS7_IJSM_SN_SO_NSH_IJLi5ELi6EEEENSH_IJLi7EEEEEEENSH_IJLi5ELi7ELi6EEEElEES16_NS6_INS7_IJSD_SF_SF_NSW_INS7_IJiNSA_IiLi256EEEEEELb0EEENSW_INS7_IJiNSA_IiLi128EEEEEELb0EEEEEENS7_IJSI_SJ_SK_SN_SO_EEENS7_IJSM_SN_SO_S12_NSH_IJLi7ELi8EEEEEEENSH_IJLi5ELi6ELi7ELi8EEEElEENS_13TensorAdaptorINS7_IJNSW_ISC_Lb0EEES1K_NS_23Merge_v2_magic_divisionINS7_IJiiSB_SB_EEEEEEEENS7_IJSI_SJ_NSH_IJLi2ELi3ELi4ELi5EEEEEEENS7_IJNSH_IJLi2ELi4EEEENSH_IJLi3ELi5EEEENSH_IJLi6EEEEEEENSH_IJLi0ELi1EEEES1T_EELb1EEEvPKT0_S1Z_PT1_T2_T3_T4_T5_T6_T7_T8_,@function
_ZN2ck37kernel_gemm_xdl_waveletmodel_cshuffleINS_53GridwiseGemm_k0mk1_k0nk1_mn_xdl_waveletmodel_cshuffleIDF16_fDF16_DF16_NS_16tensor_operation12element_wise11PassThroughES4_S4_LNS_25InMemoryDataOperationEnumE0ENS_16TensorDescriptorINS_5TupleIJNS_5EmbedINS7_IJiiEEENS7_IJiNS_17integral_constantIiLi1EEEEEELb0EEENS_11PassThroughIiEESF_EEENS7_IJNS_8SequenceIJLi0EEEENSH_IJLi1EEEENSH_IJLi2EEEEEEENS7_IJNSH_IJLi1ELi2EEEENSH_IJLi3EEEENSH_IJLi4EEEEEEENSH_IJLi3ELi4EEEElEESR_SR_Li1ELi256ELi256ELi256ELi128ELi32ELi8ELi8ELi16ELi16ELi8ELi2ENSH_IJLi4ELi64ELi1EEEENSH_IJLi1ELi0ELi2EEEEST_Li2ELi8ELi8ELb0ELi1ESS_ST_ST_Li2ELi8ELi8ELb0ELi1ELi1ELi1ENSH_IJLi1ELi32ELi1ELi8EEEELi4EEEDF16_DF16_S4_S4_S4_NS6_INS7_IJSD_SF_SF_NS_7UnMergeINS7_IJiNSA_IiLi8EEEEEELb0EEESF_EEENS7_IJSI_SJ_SK_SO_SN_EEENS7_IJSM_SN_SO_NSH_IJLi5ELi6EEEENSH_IJLi7EEEEEEENSH_IJLi5ELi7ELi6EEEElEES16_NS6_INS7_IJSD_SF_SF_NSW_INS7_IJiNSA_IiLi256EEEEEELb0EEENSW_INS7_IJiNSA_IiLi128EEEEEELb0EEEEEENS7_IJSI_SJ_SK_SN_SO_EEENS7_IJSM_SN_SO_S12_NSH_IJLi7ELi8EEEEEEENSH_IJLi5ELi6ELi7ELi8EEEElEENS_13TensorAdaptorINS7_IJNSW_ISC_Lb0EEES1K_NS_23Merge_v2_magic_divisionINS7_IJiiSB_SB_EEEEEEEENS7_IJSI_SJ_NSH_IJLi2ELi3ELi4ELi5EEEEEEENS7_IJNSH_IJLi2ELi4EEEENSH_IJLi3ELi5EEEENSH_IJLi6EEEEEEENSH_IJLi0ELi1EEEES1T_EELb1EEEvPKT0_S1Z_PT1_T2_T3_T4_T5_T6_T7_T8_: ; @_ZN2ck37kernel_gemm_xdl_waveletmodel_cshuffleINS_53GridwiseGemm_k0mk1_k0nk1_mn_xdl_waveletmodel_cshuffleIDF16_fDF16_DF16_NS_16tensor_operation12element_wise11PassThroughES4_S4_LNS_25InMemoryDataOperationEnumE0ENS_16TensorDescriptorINS_5TupleIJNS_5EmbedINS7_IJiiEEENS7_IJiNS_17integral_constantIiLi1EEEEEELb0EEENS_11PassThroughIiEESF_EEENS7_IJNS_8SequenceIJLi0EEEENSH_IJLi1EEEENSH_IJLi2EEEEEEENS7_IJNSH_IJLi1ELi2EEEENSH_IJLi3EEEENSH_IJLi4EEEEEEENSH_IJLi3ELi4EEEElEESR_SR_Li1ELi256ELi256ELi256ELi128ELi32ELi8ELi8ELi16ELi16ELi8ELi2ENSH_IJLi4ELi64ELi1EEEENSH_IJLi1ELi0ELi2EEEEST_Li2ELi8ELi8ELb0ELi1ESS_ST_ST_Li2ELi8ELi8ELb0ELi1ELi1ELi1ENSH_IJLi1ELi32ELi1ELi8EEEELi4EEEDF16_DF16_S4_S4_S4_NS6_INS7_IJSD_SF_SF_NS_7UnMergeINS7_IJiNSA_IiLi8EEEEEELb0EEESF_EEENS7_IJSI_SJ_SK_SO_SN_EEENS7_IJSM_SN_SO_NSH_IJLi5ELi6EEEENSH_IJLi7EEEEEEENSH_IJLi5ELi7ELi6EEEElEES16_NS6_INS7_IJSD_SF_SF_NSW_INS7_IJiNSA_IiLi256EEEEEELb0EEENSW_INS7_IJiNSA_IiLi128EEEEEELb0EEEEEENS7_IJSI_SJ_SK_SN_SO_EEENS7_IJSM_SN_SO_S12_NSH_IJLi7ELi8EEEEEEENSH_IJLi5ELi6ELi7ELi8EEEElEENS_13TensorAdaptorINS7_IJNSW_ISC_Lb0EEES1K_NS_23Merge_v2_magic_divisionINS7_IJiiSB_SB_EEEEEEEENS7_IJSI_SJ_NSH_IJLi2ELi3ELi4ELi5EEEEEEENS7_IJNSH_IJLi2ELi4EEEENSH_IJLi3ELi5EEEENSH_IJLi6EEEEEEENSH_IJLi0ELi1EEEES1T_EELb1EEEvPKT0_S1Z_PT1_T2_T3_T4_T5_T6_T7_T8_
; %bb.0:
	s_endpgm
	.section	.rodata,"a",@progbits
	.p2align	6, 0x0
	.amdhsa_kernel _ZN2ck37kernel_gemm_xdl_waveletmodel_cshuffleINS_53GridwiseGemm_k0mk1_k0nk1_mn_xdl_waveletmodel_cshuffleIDF16_fDF16_DF16_NS_16tensor_operation12element_wise11PassThroughES4_S4_LNS_25InMemoryDataOperationEnumE0ENS_16TensorDescriptorINS_5TupleIJNS_5EmbedINS7_IJiiEEENS7_IJiNS_17integral_constantIiLi1EEEEEELb0EEENS_11PassThroughIiEESF_EEENS7_IJNS_8SequenceIJLi0EEEENSH_IJLi1EEEENSH_IJLi2EEEEEEENS7_IJNSH_IJLi1ELi2EEEENSH_IJLi3EEEENSH_IJLi4EEEEEEENSH_IJLi3ELi4EEEElEESR_SR_Li1ELi256ELi256ELi256ELi128ELi32ELi8ELi8ELi16ELi16ELi8ELi2ENSH_IJLi4ELi64ELi1EEEENSH_IJLi1ELi0ELi2EEEEST_Li2ELi8ELi8ELb0ELi1ESS_ST_ST_Li2ELi8ELi8ELb0ELi1ELi1ELi1ENSH_IJLi1ELi32ELi1ELi8EEEELi4EEEDF16_DF16_S4_S4_S4_NS6_INS7_IJSD_SF_SF_NS_7UnMergeINS7_IJiNSA_IiLi8EEEEEELb0EEESF_EEENS7_IJSI_SJ_SK_SO_SN_EEENS7_IJSM_SN_SO_NSH_IJLi5ELi6EEEENSH_IJLi7EEEEEEENSH_IJLi5ELi7ELi6EEEElEES16_NS6_INS7_IJSD_SF_SF_NSW_INS7_IJiNSA_IiLi256EEEEEELb0EEENSW_INS7_IJiNSA_IiLi128EEEEEELb0EEEEEENS7_IJSI_SJ_SK_SN_SO_EEENS7_IJSM_SN_SO_S12_NSH_IJLi7ELi8EEEEEEENSH_IJLi5ELi6ELi7ELi8EEEElEENS_13TensorAdaptorINS7_IJNSW_ISC_Lb0EEES1K_NS_23Merge_v2_magic_divisionINS7_IJiiSB_SB_EEEEEEEENS7_IJSI_SJ_NSH_IJLi2ELi3ELi4ELi5EEEEEEENS7_IJNSH_IJLi2ELi4EEEENSH_IJLi3ELi5EEEENSH_IJLi6EEEEEEENSH_IJLi0ELi1EEEES1T_EELb1EEEvPKT0_S1Z_PT1_T2_T3_T4_T5_T6_T7_T8_
		.amdhsa_group_segment_fixed_size 0
		.amdhsa_private_segment_fixed_size 0
		.amdhsa_kernarg_size 276
		.amdhsa_user_sgpr_count 2
		.amdhsa_user_sgpr_dispatch_ptr 0
		.amdhsa_user_sgpr_queue_ptr 0
		.amdhsa_user_sgpr_kernarg_segment_ptr 1
		.amdhsa_user_sgpr_dispatch_id 0
		.amdhsa_user_sgpr_kernarg_preload_length 0
		.amdhsa_user_sgpr_kernarg_preload_offset 0
		.amdhsa_user_sgpr_private_segment_size 0
		.amdhsa_uses_dynamic_stack 0
		.amdhsa_enable_private_segment 0
		.amdhsa_system_sgpr_workgroup_id_x 1
		.amdhsa_system_sgpr_workgroup_id_y 0
		.amdhsa_system_sgpr_workgroup_id_z 0
		.amdhsa_system_sgpr_workgroup_info 0
		.amdhsa_system_vgpr_workitem_id 0
		.amdhsa_next_free_vgpr 1
		.amdhsa_next_free_sgpr 0
		.amdhsa_accum_offset 4
		.amdhsa_reserve_vcc 0
		.amdhsa_float_round_mode_32 0
		.amdhsa_float_round_mode_16_64 0
		.amdhsa_float_denorm_mode_32 3
		.amdhsa_float_denorm_mode_16_64 3
		.amdhsa_dx10_clamp 1
		.amdhsa_ieee_mode 1
		.amdhsa_fp16_overflow 0
		.amdhsa_tg_split 0
		.amdhsa_exception_fp_ieee_invalid_op 0
		.amdhsa_exception_fp_denorm_src 0
		.amdhsa_exception_fp_ieee_div_zero 0
		.amdhsa_exception_fp_ieee_overflow 0
		.amdhsa_exception_fp_ieee_underflow 0
		.amdhsa_exception_fp_ieee_inexact 0
		.amdhsa_exception_int_div_zero 0
	.end_amdhsa_kernel
	.section	.text._ZN2ck37kernel_gemm_xdl_waveletmodel_cshuffleINS_53GridwiseGemm_k0mk1_k0nk1_mn_xdl_waveletmodel_cshuffleIDF16_fDF16_DF16_NS_16tensor_operation12element_wise11PassThroughES4_S4_LNS_25InMemoryDataOperationEnumE0ENS_16TensorDescriptorINS_5TupleIJNS_5EmbedINS7_IJiiEEENS7_IJiNS_17integral_constantIiLi1EEEEEELb0EEENS_11PassThroughIiEESF_EEENS7_IJNS_8SequenceIJLi0EEEENSH_IJLi1EEEENSH_IJLi2EEEEEEENS7_IJNSH_IJLi1ELi2EEEENSH_IJLi3EEEENSH_IJLi4EEEEEEENSH_IJLi3ELi4EEEElEESR_SR_Li1ELi256ELi256ELi256ELi128ELi32ELi8ELi8ELi16ELi16ELi8ELi2ENSH_IJLi4ELi64ELi1EEEENSH_IJLi1ELi0ELi2EEEEST_Li2ELi8ELi8ELb0ELi1ESS_ST_ST_Li2ELi8ELi8ELb0ELi1ELi1ELi1ENSH_IJLi1ELi32ELi1ELi8EEEELi4EEEDF16_DF16_S4_S4_S4_NS6_INS7_IJSD_SF_SF_NS_7UnMergeINS7_IJiNSA_IiLi8EEEEEELb0EEESF_EEENS7_IJSI_SJ_SK_SO_SN_EEENS7_IJSM_SN_SO_NSH_IJLi5ELi6EEEENSH_IJLi7EEEEEEENSH_IJLi5ELi7ELi6EEEElEES16_NS6_INS7_IJSD_SF_SF_NSW_INS7_IJiNSA_IiLi256EEEEEELb0EEENSW_INS7_IJiNSA_IiLi128EEEEEELb0EEEEEENS7_IJSI_SJ_SK_SN_SO_EEENS7_IJSM_SN_SO_S12_NSH_IJLi7ELi8EEEEEEENSH_IJLi5ELi6ELi7ELi8EEEElEENS_13TensorAdaptorINS7_IJNSW_ISC_Lb0EEES1K_NS_23Merge_v2_magic_divisionINS7_IJiiSB_SB_EEEEEEEENS7_IJSI_SJ_NSH_IJLi2ELi3ELi4ELi5EEEEEEENS7_IJNSH_IJLi2ELi4EEEENSH_IJLi3ELi5EEEENSH_IJLi6EEEEEEENSH_IJLi0ELi1EEEES1T_EELb1EEEvPKT0_S1Z_PT1_T2_T3_T4_T5_T6_T7_T8_,"axG",@progbits,_ZN2ck37kernel_gemm_xdl_waveletmodel_cshuffleINS_53GridwiseGemm_k0mk1_k0nk1_mn_xdl_waveletmodel_cshuffleIDF16_fDF16_DF16_NS_16tensor_operation12element_wise11PassThroughES4_S4_LNS_25InMemoryDataOperationEnumE0ENS_16TensorDescriptorINS_5TupleIJNS_5EmbedINS7_IJiiEEENS7_IJiNS_17integral_constantIiLi1EEEEEELb0EEENS_11PassThroughIiEESF_EEENS7_IJNS_8SequenceIJLi0EEEENSH_IJLi1EEEENSH_IJLi2EEEEEEENS7_IJNSH_IJLi1ELi2EEEENSH_IJLi3EEEENSH_IJLi4EEEEEEENSH_IJLi3ELi4EEEElEESR_SR_Li1ELi256ELi256ELi256ELi128ELi32ELi8ELi8ELi16ELi16ELi8ELi2ENSH_IJLi4ELi64ELi1EEEENSH_IJLi1ELi0ELi2EEEEST_Li2ELi8ELi8ELb0ELi1ESS_ST_ST_Li2ELi8ELi8ELb0ELi1ELi1ELi1ENSH_IJLi1ELi32ELi1ELi8EEEELi4EEEDF16_DF16_S4_S4_S4_NS6_INS7_IJSD_SF_SF_NS_7UnMergeINS7_IJiNSA_IiLi8EEEEEELb0EEESF_EEENS7_IJSI_SJ_SK_SO_SN_EEENS7_IJSM_SN_SO_NSH_IJLi5ELi6EEEENSH_IJLi7EEEEEEENSH_IJLi5ELi7ELi6EEEElEES16_NS6_INS7_IJSD_SF_SF_NSW_INS7_IJiNSA_IiLi256EEEEEELb0EEENSW_INS7_IJiNSA_IiLi128EEEEEELb0EEEEEENS7_IJSI_SJ_SK_SN_SO_EEENS7_IJSM_SN_SO_S12_NSH_IJLi7ELi8EEEEEEENSH_IJLi5ELi6ELi7ELi8EEEElEENS_13TensorAdaptorINS7_IJNSW_ISC_Lb0EEES1K_NS_23Merge_v2_magic_divisionINS7_IJiiSB_SB_EEEEEEEENS7_IJSI_SJ_NSH_IJLi2ELi3ELi4ELi5EEEEEEENS7_IJNSH_IJLi2ELi4EEEENSH_IJLi3ELi5EEEENSH_IJLi6EEEEEEENSH_IJLi0ELi1EEEES1T_EELb1EEEvPKT0_S1Z_PT1_T2_T3_T4_T5_T6_T7_T8_,comdat
.Lfunc_end3:
	.size	_ZN2ck37kernel_gemm_xdl_waveletmodel_cshuffleINS_53GridwiseGemm_k0mk1_k0nk1_mn_xdl_waveletmodel_cshuffleIDF16_fDF16_DF16_NS_16tensor_operation12element_wise11PassThroughES4_S4_LNS_25InMemoryDataOperationEnumE0ENS_16TensorDescriptorINS_5TupleIJNS_5EmbedINS7_IJiiEEENS7_IJiNS_17integral_constantIiLi1EEEEEELb0EEENS_11PassThroughIiEESF_EEENS7_IJNS_8SequenceIJLi0EEEENSH_IJLi1EEEENSH_IJLi2EEEEEEENS7_IJNSH_IJLi1ELi2EEEENSH_IJLi3EEEENSH_IJLi4EEEEEEENSH_IJLi3ELi4EEEElEESR_SR_Li1ELi256ELi256ELi256ELi128ELi32ELi8ELi8ELi16ELi16ELi8ELi2ENSH_IJLi4ELi64ELi1EEEENSH_IJLi1ELi0ELi2EEEEST_Li2ELi8ELi8ELb0ELi1ESS_ST_ST_Li2ELi8ELi8ELb0ELi1ELi1ELi1ENSH_IJLi1ELi32ELi1ELi8EEEELi4EEEDF16_DF16_S4_S4_S4_NS6_INS7_IJSD_SF_SF_NS_7UnMergeINS7_IJiNSA_IiLi8EEEEEELb0EEESF_EEENS7_IJSI_SJ_SK_SO_SN_EEENS7_IJSM_SN_SO_NSH_IJLi5ELi6EEEENSH_IJLi7EEEEEEENSH_IJLi5ELi7ELi6EEEElEES16_NS6_INS7_IJSD_SF_SF_NSW_INS7_IJiNSA_IiLi256EEEEEELb0EEENSW_INS7_IJiNSA_IiLi128EEEEEELb0EEEEEENS7_IJSI_SJ_SK_SN_SO_EEENS7_IJSM_SN_SO_S12_NSH_IJLi7ELi8EEEEEEENSH_IJLi5ELi6ELi7ELi8EEEElEENS_13TensorAdaptorINS7_IJNSW_ISC_Lb0EEES1K_NS_23Merge_v2_magic_divisionINS7_IJiiSB_SB_EEEEEEEENS7_IJSI_SJ_NSH_IJLi2ELi3ELi4ELi5EEEEEEENS7_IJNSH_IJLi2ELi4EEEENSH_IJLi3ELi5EEEENSH_IJLi6EEEEEEENSH_IJLi0ELi1EEEES1T_EELb1EEEvPKT0_S1Z_PT1_T2_T3_T4_T5_T6_T7_T8_, .Lfunc_end3-_ZN2ck37kernel_gemm_xdl_waveletmodel_cshuffleINS_53GridwiseGemm_k0mk1_k0nk1_mn_xdl_waveletmodel_cshuffleIDF16_fDF16_DF16_NS_16tensor_operation12element_wise11PassThroughES4_S4_LNS_25InMemoryDataOperationEnumE0ENS_16TensorDescriptorINS_5TupleIJNS_5EmbedINS7_IJiiEEENS7_IJiNS_17integral_constantIiLi1EEEEEELb0EEENS_11PassThroughIiEESF_EEENS7_IJNS_8SequenceIJLi0EEEENSH_IJLi1EEEENSH_IJLi2EEEEEEENS7_IJNSH_IJLi1ELi2EEEENSH_IJLi3EEEENSH_IJLi4EEEEEEENSH_IJLi3ELi4EEEElEESR_SR_Li1ELi256ELi256ELi256ELi128ELi32ELi8ELi8ELi16ELi16ELi8ELi2ENSH_IJLi4ELi64ELi1EEEENSH_IJLi1ELi0ELi2EEEEST_Li2ELi8ELi8ELb0ELi1ESS_ST_ST_Li2ELi8ELi8ELb0ELi1ELi1ELi1ENSH_IJLi1ELi32ELi1ELi8EEEELi4EEEDF16_DF16_S4_S4_S4_NS6_INS7_IJSD_SF_SF_NS_7UnMergeINS7_IJiNSA_IiLi8EEEEEELb0EEESF_EEENS7_IJSI_SJ_SK_SO_SN_EEENS7_IJSM_SN_SO_NSH_IJLi5ELi6EEEENSH_IJLi7EEEEEEENSH_IJLi5ELi7ELi6EEEElEES16_NS6_INS7_IJSD_SF_SF_NSW_INS7_IJiNSA_IiLi256EEEEEELb0EEENSW_INS7_IJiNSA_IiLi128EEEEEELb0EEEEEENS7_IJSI_SJ_SK_SN_SO_EEENS7_IJSM_SN_SO_S12_NSH_IJLi7ELi8EEEEEEENSH_IJLi5ELi6ELi7ELi8EEEElEENS_13TensorAdaptorINS7_IJNSW_ISC_Lb0EEES1K_NS_23Merge_v2_magic_divisionINS7_IJiiSB_SB_EEEEEEEENS7_IJSI_SJ_NSH_IJLi2ELi3ELi4ELi5EEEEEEENS7_IJNSH_IJLi2ELi4EEEENSH_IJLi3ELi5EEEENSH_IJLi6EEEEEEENSH_IJLi0ELi1EEEES1T_EELb1EEEvPKT0_S1Z_PT1_T2_T3_T4_T5_T6_T7_T8_
                                        ; -- End function
	.set _ZN2ck37kernel_gemm_xdl_waveletmodel_cshuffleINS_53GridwiseGemm_k0mk1_k0nk1_mn_xdl_waveletmodel_cshuffleIDF16_fDF16_DF16_NS_16tensor_operation12element_wise11PassThroughES4_S4_LNS_25InMemoryDataOperationEnumE0ENS_16TensorDescriptorINS_5TupleIJNS_5EmbedINS7_IJiiEEENS7_IJiNS_17integral_constantIiLi1EEEEEELb0EEENS_11PassThroughIiEESF_EEENS7_IJNS_8SequenceIJLi0EEEENSH_IJLi1EEEENSH_IJLi2EEEEEEENS7_IJNSH_IJLi1ELi2EEEENSH_IJLi3EEEENSH_IJLi4EEEEEEENSH_IJLi3ELi4EEEElEESR_SR_Li1ELi256ELi256ELi256ELi128ELi32ELi8ELi8ELi16ELi16ELi8ELi2ENSH_IJLi4ELi64ELi1EEEENSH_IJLi1ELi0ELi2EEEEST_Li2ELi8ELi8ELb0ELi1ESS_ST_ST_Li2ELi8ELi8ELb0ELi1ELi1ELi1ENSH_IJLi1ELi32ELi1ELi8EEEELi4EEEDF16_DF16_S4_S4_S4_NS6_INS7_IJSD_SF_SF_NS_7UnMergeINS7_IJiNSA_IiLi8EEEEEELb0EEESF_EEENS7_IJSI_SJ_SK_SO_SN_EEENS7_IJSM_SN_SO_NSH_IJLi5ELi6EEEENSH_IJLi7EEEEEEENSH_IJLi5ELi7ELi6EEEElEES16_NS6_INS7_IJSD_SF_SF_NSW_INS7_IJiNSA_IiLi256EEEEEELb0EEENSW_INS7_IJiNSA_IiLi128EEEEEELb0EEEEEENS7_IJSI_SJ_SK_SN_SO_EEENS7_IJSM_SN_SO_S12_NSH_IJLi7ELi8EEEEEEENSH_IJLi5ELi6ELi7ELi8EEEElEENS_13TensorAdaptorINS7_IJNSW_ISC_Lb0EEES1K_NS_23Merge_v2_magic_divisionINS7_IJiiSB_SB_EEEEEEEENS7_IJSI_SJ_NSH_IJLi2ELi3ELi4ELi5EEEEEEENS7_IJNSH_IJLi2ELi4EEEENSH_IJLi3ELi5EEEENSH_IJLi6EEEEEEENSH_IJLi0ELi1EEEES1T_EELb1EEEvPKT0_S1Z_PT1_T2_T3_T4_T5_T6_T7_T8_.num_vgpr, 0
	.set _ZN2ck37kernel_gemm_xdl_waveletmodel_cshuffleINS_53GridwiseGemm_k0mk1_k0nk1_mn_xdl_waveletmodel_cshuffleIDF16_fDF16_DF16_NS_16tensor_operation12element_wise11PassThroughES4_S4_LNS_25InMemoryDataOperationEnumE0ENS_16TensorDescriptorINS_5TupleIJNS_5EmbedINS7_IJiiEEENS7_IJiNS_17integral_constantIiLi1EEEEEELb0EEENS_11PassThroughIiEESF_EEENS7_IJNS_8SequenceIJLi0EEEENSH_IJLi1EEEENSH_IJLi2EEEEEEENS7_IJNSH_IJLi1ELi2EEEENSH_IJLi3EEEENSH_IJLi4EEEEEEENSH_IJLi3ELi4EEEElEESR_SR_Li1ELi256ELi256ELi256ELi128ELi32ELi8ELi8ELi16ELi16ELi8ELi2ENSH_IJLi4ELi64ELi1EEEENSH_IJLi1ELi0ELi2EEEEST_Li2ELi8ELi8ELb0ELi1ESS_ST_ST_Li2ELi8ELi8ELb0ELi1ELi1ELi1ENSH_IJLi1ELi32ELi1ELi8EEEELi4EEEDF16_DF16_S4_S4_S4_NS6_INS7_IJSD_SF_SF_NS_7UnMergeINS7_IJiNSA_IiLi8EEEEEELb0EEESF_EEENS7_IJSI_SJ_SK_SO_SN_EEENS7_IJSM_SN_SO_NSH_IJLi5ELi6EEEENSH_IJLi7EEEEEEENSH_IJLi5ELi7ELi6EEEElEES16_NS6_INS7_IJSD_SF_SF_NSW_INS7_IJiNSA_IiLi256EEEEEELb0EEENSW_INS7_IJiNSA_IiLi128EEEEEELb0EEEEEENS7_IJSI_SJ_SK_SN_SO_EEENS7_IJSM_SN_SO_S12_NSH_IJLi7ELi8EEEEEEENSH_IJLi5ELi6ELi7ELi8EEEElEENS_13TensorAdaptorINS7_IJNSW_ISC_Lb0EEES1K_NS_23Merge_v2_magic_divisionINS7_IJiiSB_SB_EEEEEEEENS7_IJSI_SJ_NSH_IJLi2ELi3ELi4ELi5EEEEEEENS7_IJNSH_IJLi2ELi4EEEENSH_IJLi3ELi5EEEENSH_IJLi6EEEEEEENSH_IJLi0ELi1EEEES1T_EELb1EEEvPKT0_S1Z_PT1_T2_T3_T4_T5_T6_T7_T8_.num_agpr, 0
	.set _ZN2ck37kernel_gemm_xdl_waveletmodel_cshuffleINS_53GridwiseGemm_k0mk1_k0nk1_mn_xdl_waveletmodel_cshuffleIDF16_fDF16_DF16_NS_16tensor_operation12element_wise11PassThroughES4_S4_LNS_25InMemoryDataOperationEnumE0ENS_16TensorDescriptorINS_5TupleIJNS_5EmbedINS7_IJiiEEENS7_IJiNS_17integral_constantIiLi1EEEEEELb0EEENS_11PassThroughIiEESF_EEENS7_IJNS_8SequenceIJLi0EEEENSH_IJLi1EEEENSH_IJLi2EEEEEEENS7_IJNSH_IJLi1ELi2EEEENSH_IJLi3EEEENSH_IJLi4EEEEEEENSH_IJLi3ELi4EEEElEESR_SR_Li1ELi256ELi256ELi256ELi128ELi32ELi8ELi8ELi16ELi16ELi8ELi2ENSH_IJLi4ELi64ELi1EEEENSH_IJLi1ELi0ELi2EEEEST_Li2ELi8ELi8ELb0ELi1ESS_ST_ST_Li2ELi8ELi8ELb0ELi1ELi1ELi1ENSH_IJLi1ELi32ELi1ELi8EEEELi4EEEDF16_DF16_S4_S4_S4_NS6_INS7_IJSD_SF_SF_NS_7UnMergeINS7_IJiNSA_IiLi8EEEEEELb0EEESF_EEENS7_IJSI_SJ_SK_SO_SN_EEENS7_IJSM_SN_SO_NSH_IJLi5ELi6EEEENSH_IJLi7EEEEEEENSH_IJLi5ELi7ELi6EEEElEES16_NS6_INS7_IJSD_SF_SF_NSW_INS7_IJiNSA_IiLi256EEEEEELb0EEENSW_INS7_IJiNSA_IiLi128EEEEEELb0EEEEEENS7_IJSI_SJ_SK_SN_SO_EEENS7_IJSM_SN_SO_S12_NSH_IJLi7ELi8EEEEEEENSH_IJLi5ELi6ELi7ELi8EEEElEENS_13TensorAdaptorINS7_IJNSW_ISC_Lb0EEES1K_NS_23Merge_v2_magic_divisionINS7_IJiiSB_SB_EEEEEEEENS7_IJSI_SJ_NSH_IJLi2ELi3ELi4ELi5EEEEEEENS7_IJNSH_IJLi2ELi4EEEENSH_IJLi3ELi5EEEENSH_IJLi6EEEEEEENSH_IJLi0ELi1EEEES1T_EELb1EEEvPKT0_S1Z_PT1_T2_T3_T4_T5_T6_T7_T8_.numbered_sgpr, 0
	.set _ZN2ck37kernel_gemm_xdl_waveletmodel_cshuffleINS_53GridwiseGemm_k0mk1_k0nk1_mn_xdl_waveletmodel_cshuffleIDF16_fDF16_DF16_NS_16tensor_operation12element_wise11PassThroughES4_S4_LNS_25InMemoryDataOperationEnumE0ENS_16TensorDescriptorINS_5TupleIJNS_5EmbedINS7_IJiiEEENS7_IJiNS_17integral_constantIiLi1EEEEEELb0EEENS_11PassThroughIiEESF_EEENS7_IJNS_8SequenceIJLi0EEEENSH_IJLi1EEEENSH_IJLi2EEEEEEENS7_IJNSH_IJLi1ELi2EEEENSH_IJLi3EEEENSH_IJLi4EEEEEEENSH_IJLi3ELi4EEEElEESR_SR_Li1ELi256ELi256ELi256ELi128ELi32ELi8ELi8ELi16ELi16ELi8ELi2ENSH_IJLi4ELi64ELi1EEEENSH_IJLi1ELi0ELi2EEEEST_Li2ELi8ELi8ELb0ELi1ESS_ST_ST_Li2ELi8ELi8ELb0ELi1ELi1ELi1ENSH_IJLi1ELi32ELi1ELi8EEEELi4EEEDF16_DF16_S4_S4_S4_NS6_INS7_IJSD_SF_SF_NS_7UnMergeINS7_IJiNSA_IiLi8EEEEEELb0EEESF_EEENS7_IJSI_SJ_SK_SO_SN_EEENS7_IJSM_SN_SO_NSH_IJLi5ELi6EEEENSH_IJLi7EEEEEEENSH_IJLi5ELi7ELi6EEEElEES16_NS6_INS7_IJSD_SF_SF_NSW_INS7_IJiNSA_IiLi256EEEEEELb0EEENSW_INS7_IJiNSA_IiLi128EEEEEELb0EEEEEENS7_IJSI_SJ_SK_SN_SO_EEENS7_IJSM_SN_SO_S12_NSH_IJLi7ELi8EEEEEEENSH_IJLi5ELi6ELi7ELi8EEEElEENS_13TensorAdaptorINS7_IJNSW_ISC_Lb0EEES1K_NS_23Merge_v2_magic_divisionINS7_IJiiSB_SB_EEEEEEEENS7_IJSI_SJ_NSH_IJLi2ELi3ELi4ELi5EEEEEEENS7_IJNSH_IJLi2ELi4EEEENSH_IJLi3ELi5EEEENSH_IJLi6EEEEEEENSH_IJLi0ELi1EEEES1T_EELb1EEEvPKT0_S1Z_PT1_T2_T3_T4_T5_T6_T7_T8_.num_named_barrier, 0
	.set _ZN2ck37kernel_gemm_xdl_waveletmodel_cshuffleINS_53GridwiseGemm_k0mk1_k0nk1_mn_xdl_waveletmodel_cshuffleIDF16_fDF16_DF16_NS_16tensor_operation12element_wise11PassThroughES4_S4_LNS_25InMemoryDataOperationEnumE0ENS_16TensorDescriptorINS_5TupleIJNS_5EmbedINS7_IJiiEEENS7_IJiNS_17integral_constantIiLi1EEEEEELb0EEENS_11PassThroughIiEESF_EEENS7_IJNS_8SequenceIJLi0EEEENSH_IJLi1EEEENSH_IJLi2EEEEEEENS7_IJNSH_IJLi1ELi2EEEENSH_IJLi3EEEENSH_IJLi4EEEEEEENSH_IJLi3ELi4EEEElEESR_SR_Li1ELi256ELi256ELi256ELi128ELi32ELi8ELi8ELi16ELi16ELi8ELi2ENSH_IJLi4ELi64ELi1EEEENSH_IJLi1ELi0ELi2EEEEST_Li2ELi8ELi8ELb0ELi1ESS_ST_ST_Li2ELi8ELi8ELb0ELi1ELi1ELi1ENSH_IJLi1ELi32ELi1ELi8EEEELi4EEEDF16_DF16_S4_S4_S4_NS6_INS7_IJSD_SF_SF_NS_7UnMergeINS7_IJiNSA_IiLi8EEEEEELb0EEESF_EEENS7_IJSI_SJ_SK_SO_SN_EEENS7_IJSM_SN_SO_NSH_IJLi5ELi6EEEENSH_IJLi7EEEEEEENSH_IJLi5ELi7ELi6EEEElEES16_NS6_INS7_IJSD_SF_SF_NSW_INS7_IJiNSA_IiLi256EEEEEELb0EEENSW_INS7_IJiNSA_IiLi128EEEEEELb0EEEEEENS7_IJSI_SJ_SK_SN_SO_EEENS7_IJSM_SN_SO_S12_NSH_IJLi7ELi8EEEEEEENSH_IJLi5ELi6ELi7ELi8EEEElEENS_13TensorAdaptorINS7_IJNSW_ISC_Lb0EEES1K_NS_23Merge_v2_magic_divisionINS7_IJiiSB_SB_EEEEEEEENS7_IJSI_SJ_NSH_IJLi2ELi3ELi4ELi5EEEEEEENS7_IJNSH_IJLi2ELi4EEEENSH_IJLi3ELi5EEEENSH_IJLi6EEEEEEENSH_IJLi0ELi1EEEES1T_EELb1EEEvPKT0_S1Z_PT1_T2_T3_T4_T5_T6_T7_T8_.private_seg_size, 0
	.set _ZN2ck37kernel_gemm_xdl_waveletmodel_cshuffleINS_53GridwiseGemm_k0mk1_k0nk1_mn_xdl_waveletmodel_cshuffleIDF16_fDF16_DF16_NS_16tensor_operation12element_wise11PassThroughES4_S4_LNS_25InMemoryDataOperationEnumE0ENS_16TensorDescriptorINS_5TupleIJNS_5EmbedINS7_IJiiEEENS7_IJiNS_17integral_constantIiLi1EEEEEELb0EEENS_11PassThroughIiEESF_EEENS7_IJNS_8SequenceIJLi0EEEENSH_IJLi1EEEENSH_IJLi2EEEEEEENS7_IJNSH_IJLi1ELi2EEEENSH_IJLi3EEEENSH_IJLi4EEEEEEENSH_IJLi3ELi4EEEElEESR_SR_Li1ELi256ELi256ELi256ELi128ELi32ELi8ELi8ELi16ELi16ELi8ELi2ENSH_IJLi4ELi64ELi1EEEENSH_IJLi1ELi0ELi2EEEEST_Li2ELi8ELi8ELb0ELi1ESS_ST_ST_Li2ELi8ELi8ELb0ELi1ELi1ELi1ENSH_IJLi1ELi32ELi1ELi8EEEELi4EEEDF16_DF16_S4_S4_S4_NS6_INS7_IJSD_SF_SF_NS_7UnMergeINS7_IJiNSA_IiLi8EEEEEELb0EEESF_EEENS7_IJSI_SJ_SK_SO_SN_EEENS7_IJSM_SN_SO_NSH_IJLi5ELi6EEEENSH_IJLi7EEEEEEENSH_IJLi5ELi7ELi6EEEElEES16_NS6_INS7_IJSD_SF_SF_NSW_INS7_IJiNSA_IiLi256EEEEEELb0EEENSW_INS7_IJiNSA_IiLi128EEEEEELb0EEEEEENS7_IJSI_SJ_SK_SN_SO_EEENS7_IJSM_SN_SO_S12_NSH_IJLi7ELi8EEEEEEENSH_IJLi5ELi6ELi7ELi8EEEElEENS_13TensorAdaptorINS7_IJNSW_ISC_Lb0EEES1K_NS_23Merge_v2_magic_divisionINS7_IJiiSB_SB_EEEEEEEENS7_IJSI_SJ_NSH_IJLi2ELi3ELi4ELi5EEEEEEENS7_IJNSH_IJLi2ELi4EEEENSH_IJLi3ELi5EEEENSH_IJLi6EEEEEEENSH_IJLi0ELi1EEEES1T_EELb1EEEvPKT0_S1Z_PT1_T2_T3_T4_T5_T6_T7_T8_.uses_vcc, 0
	.set _ZN2ck37kernel_gemm_xdl_waveletmodel_cshuffleINS_53GridwiseGemm_k0mk1_k0nk1_mn_xdl_waveletmodel_cshuffleIDF16_fDF16_DF16_NS_16tensor_operation12element_wise11PassThroughES4_S4_LNS_25InMemoryDataOperationEnumE0ENS_16TensorDescriptorINS_5TupleIJNS_5EmbedINS7_IJiiEEENS7_IJiNS_17integral_constantIiLi1EEEEEELb0EEENS_11PassThroughIiEESF_EEENS7_IJNS_8SequenceIJLi0EEEENSH_IJLi1EEEENSH_IJLi2EEEEEEENS7_IJNSH_IJLi1ELi2EEEENSH_IJLi3EEEENSH_IJLi4EEEEEEENSH_IJLi3ELi4EEEElEESR_SR_Li1ELi256ELi256ELi256ELi128ELi32ELi8ELi8ELi16ELi16ELi8ELi2ENSH_IJLi4ELi64ELi1EEEENSH_IJLi1ELi0ELi2EEEEST_Li2ELi8ELi8ELb0ELi1ESS_ST_ST_Li2ELi8ELi8ELb0ELi1ELi1ELi1ENSH_IJLi1ELi32ELi1ELi8EEEELi4EEEDF16_DF16_S4_S4_S4_NS6_INS7_IJSD_SF_SF_NS_7UnMergeINS7_IJiNSA_IiLi8EEEEEELb0EEESF_EEENS7_IJSI_SJ_SK_SO_SN_EEENS7_IJSM_SN_SO_NSH_IJLi5ELi6EEEENSH_IJLi7EEEEEEENSH_IJLi5ELi7ELi6EEEElEES16_NS6_INS7_IJSD_SF_SF_NSW_INS7_IJiNSA_IiLi256EEEEEELb0EEENSW_INS7_IJiNSA_IiLi128EEEEEELb0EEEEEENS7_IJSI_SJ_SK_SN_SO_EEENS7_IJSM_SN_SO_S12_NSH_IJLi7ELi8EEEEEEENSH_IJLi5ELi6ELi7ELi8EEEElEENS_13TensorAdaptorINS7_IJNSW_ISC_Lb0EEES1K_NS_23Merge_v2_magic_divisionINS7_IJiiSB_SB_EEEEEEEENS7_IJSI_SJ_NSH_IJLi2ELi3ELi4ELi5EEEEEEENS7_IJNSH_IJLi2ELi4EEEENSH_IJLi3ELi5EEEENSH_IJLi6EEEEEEENSH_IJLi0ELi1EEEES1T_EELb1EEEvPKT0_S1Z_PT1_T2_T3_T4_T5_T6_T7_T8_.uses_flat_scratch, 0
	.set _ZN2ck37kernel_gemm_xdl_waveletmodel_cshuffleINS_53GridwiseGemm_k0mk1_k0nk1_mn_xdl_waveletmodel_cshuffleIDF16_fDF16_DF16_NS_16tensor_operation12element_wise11PassThroughES4_S4_LNS_25InMemoryDataOperationEnumE0ENS_16TensorDescriptorINS_5TupleIJNS_5EmbedINS7_IJiiEEENS7_IJiNS_17integral_constantIiLi1EEEEEELb0EEENS_11PassThroughIiEESF_EEENS7_IJNS_8SequenceIJLi0EEEENSH_IJLi1EEEENSH_IJLi2EEEEEEENS7_IJNSH_IJLi1ELi2EEEENSH_IJLi3EEEENSH_IJLi4EEEEEEENSH_IJLi3ELi4EEEElEESR_SR_Li1ELi256ELi256ELi256ELi128ELi32ELi8ELi8ELi16ELi16ELi8ELi2ENSH_IJLi4ELi64ELi1EEEENSH_IJLi1ELi0ELi2EEEEST_Li2ELi8ELi8ELb0ELi1ESS_ST_ST_Li2ELi8ELi8ELb0ELi1ELi1ELi1ENSH_IJLi1ELi32ELi1ELi8EEEELi4EEEDF16_DF16_S4_S4_S4_NS6_INS7_IJSD_SF_SF_NS_7UnMergeINS7_IJiNSA_IiLi8EEEEEELb0EEESF_EEENS7_IJSI_SJ_SK_SO_SN_EEENS7_IJSM_SN_SO_NSH_IJLi5ELi6EEEENSH_IJLi7EEEEEEENSH_IJLi5ELi7ELi6EEEElEES16_NS6_INS7_IJSD_SF_SF_NSW_INS7_IJiNSA_IiLi256EEEEEELb0EEENSW_INS7_IJiNSA_IiLi128EEEEEELb0EEEEEENS7_IJSI_SJ_SK_SN_SO_EEENS7_IJSM_SN_SO_S12_NSH_IJLi7ELi8EEEEEEENSH_IJLi5ELi6ELi7ELi8EEEElEENS_13TensorAdaptorINS7_IJNSW_ISC_Lb0EEES1K_NS_23Merge_v2_magic_divisionINS7_IJiiSB_SB_EEEEEEEENS7_IJSI_SJ_NSH_IJLi2ELi3ELi4ELi5EEEEEEENS7_IJNSH_IJLi2ELi4EEEENSH_IJLi3ELi5EEEENSH_IJLi6EEEEEEENSH_IJLi0ELi1EEEES1T_EELb1EEEvPKT0_S1Z_PT1_T2_T3_T4_T5_T6_T7_T8_.has_dyn_sized_stack, 0
	.set _ZN2ck37kernel_gemm_xdl_waveletmodel_cshuffleINS_53GridwiseGemm_k0mk1_k0nk1_mn_xdl_waveletmodel_cshuffleIDF16_fDF16_DF16_NS_16tensor_operation12element_wise11PassThroughES4_S4_LNS_25InMemoryDataOperationEnumE0ENS_16TensorDescriptorINS_5TupleIJNS_5EmbedINS7_IJiiEEENS7_IJiNS_17integral_constantIiLi1EEEEEELb0EEENS_11PassThroughIiEESF_EEENS7_IJNS_8SequenceIJLi0EEEENSH_IJLi1EEEENSH_IJLi2EEEEEEENS7_IJNSH_IJLi1ELi2EEEENSH_IJLi3EEEENSH_IJLi4EEEEEEENSH_IJLi3ELi4EEEElEESR_SR_Li1ELi256ELi256ELi256ELi128ELi32ELi8ELi8ELi16ELi16ELi8ELi2ENSH_IJLi4ELi64ELi1EEEENSH_IJLi1ELi0ELi2EEEEST_Li2ELi8ELi8ELb0ELi1ESS_ST_ST_Li2ELi8ELi8ELb0ELi1ELi1ELi1ENSH_IJLi1ELi32ELi1ELi8EEEELi4EEEDF16_DF16_S4_S4_S4_NS6_INS7_IJSD_SF_SF_NS_7UnMergeINS7_IJiNSA_IiLi8EEEEEELb0EEESF_EEENS7_IJSI_SJ_SK_SO_SN_EEENS7_IJSM_SN_SO_NSH_IJLi5ELi6EEEENSH_IJLi7EEEEEEENSH_IJLi5ELi7ELi6EEEElEES16_NS6_INS7_IJSD_SF_SF_NSW_INS7_IJiNSA_IiLi256EEEEEELb0EEENSW_INS7_IJiNSA_IiLi128EEEEEELb0EEEEEENS7_IJSI_SJ_SK_SN_SO_EEENS7_IJSM_SN_SO_S12_NSH_IJLi7ELi8EEEEEEENSH_IJLi5ELi6ELi7ELi8EEEElEENS_13TensorAdaptorINS7_IJNSW_ISC_Lb0EEES1K_NS_23Merge_v2_magic_divisionINS7_IJiiSB_SB_EEEEEEEENS7_IJSI_SJ_NSH_IJLi2ELi3ELi4ELi5EEEEEEENS7_IJNSH_IJLi2ELi4EEEENSH_IJLi3ELi5EEEENSH_IJLi6EEEEEEENSH_IJLi0ELi1EEEES1T_EELb1EEEvPKT0_S1Z_PT1_T2_T3_T4_T5_T6_T7_T8_.has_recursion, 0
	.set _ZN2ck37kernel_gemm_xdl_waveletmodel_cshuffleINS_53GridwiseGemm_k0mk1_k0nk1_mn_xdl_waveletmodel_cshuffleIDF16_fDF16_DF16_NS_16tensor_operation12element_wise11PassThroughES4_S4_LNS_25InMemoryDataOperationEnumE0ENS_16TensorDescriptorINS_5TupleIJNS_5EmbedINS7_IJiiEEENS7_IJiNS_17integral_constantIiLi1EEEEEELb0EEENS_11PassThroughIiEESF_EEENS7_IJNS_8SequenceIJLi0EEEENSH_IJLi1EEEENSH_IJLi2EEEEEEENS7_IJNSH_IJLi1ELi2EEEENSH_IJLi3EEEENSH_IJLi4EEEEEEENSH_IJLi3ELi4EEEElEESR_SR_Li1ELi256ELi256ELi256ELi128ELi32ELi8ELi8ELi16ELi16ELi8ELi2ENSH_IJLi4ELi64ELi1EEEENSH_IJLi1ELi0ELi2EEEEST_Li2ELi8ELi8ELb0ELi1ESS_ST_ST_Li2ELi8ELi8ELb0ELi1ELi1ELi1ENSH_IJLi1ELi32ELi1ELi8EEEELi4EEEDF16_DF16_S4_S4_S4_NS6_INS7_IJSD_SF_SF_NS_7UnMergeINS7_IJiNSA_IiLi8EEEEEELb0EEESF_EEENS7_IJSI_SJ_SK_SO_SN_EEENS7_IJSM_SN_SO_NSH_IJLi5ELi6EEEENSH_IJLi7EEEEEEENSH_IJLi5ELi7ELi6EEEElEES16_NS6_INS7_IJSD_SF_SF_NSW_INS7_IJiNSA_IiLi256EEEEEELb0EEENSW_INS7_IJiNSA_IiLi128EEEEEELb0EEEEEENS7_IJSI_SJ_SK_SN_SO_EEENS7_IJSM_SN_SO_S12_NSH_IJLi7ELi8EEEEEEENSH_IJLi5ELi6ELi7ELi8EEEElEENS_13TensorAdaptorINS7_IJNSW_ISC_Lb0EEES1K_NS_23Merge_v2_magic_divisionINS7_IJiiSB_SB_EEEEEEEENS7_IJSI_SJ_NSH_IJLi2ELi3ELi4ELi5EEEEEEENS7_IJNSH_IJLi2ELi4EEEENSH_IJLi3ELi5EEEENSH_IJLi6EEEEEEENSH_IJLi0ELi1EEEES1T_EELb1EEEvPKT0_S1Z_PT1_T2_T3_T4_T5_T6_T7_T8_.has_indirect_call, 0
	.section	.AMDGPU.csdata,"",@progbits
; Kernel info:
; codeLenInByte = 4
; TotalNumSgprs: 6
; NumVgprs: 0
; NumAgprs: 0
; TotalNumVgprs: 0
; ScratchSize: 0
; MemoryBound: 0
; FloatMode: 240
; IeeeMode: 1
; LDSByteSize: 0 bytes/workgroup (compile time only)
; SGPRBlocks: 0
; VGPRBlocks: 0
; NumSGPRsForWavesPerEU: 6
; NumVGPRsForWavesPerEU: 1
; AccumOffset: 4
; Occupancy: 8
; WaveLimiterHint : 0
; COMPUTE_PGM_RSRC2:SCRATCH_EN: 0
; COMPUTE_PGM_RSRC2:USER_SGPR: 2
; COMPUTE_PGM_RSRC2:TRAP_HANDLER: 0
; COMPUTE_PGM_RSRC2:TGID_X_EN: 1
; COMPUTE_PGM_RSRC2:TGID_Y_EN: 0
; COMPUTE_PGM_RSRC2:TGID_Z_EN: 0
; COMPUTE_PGM_RSRC2:TIDIG_COMP_CNT: 0
; COMPUTE_PGM_RSRC3_GFX90A:ACCUM_OFFSET: 0
; COMPUTE_PGM_RSRC3_GFX90A:TG_SPLIT: 0
	.section	.text._ZN2ck37kernel_gemm_xdl_waveletmodel_cshuffleINS_53GridwiseGemm_k0mk1_k0nk1_mn_xdl_waveletmodel_cshuffleIDF16_fDF16_DF16_NS_16tensor_operation12element_wise11PassThroughES4_S4_LNS_25InMemoryDataOperationEnumE0ENS_16TensorDescriptorINS_5TupleIJNS_5EmbedINS7_IJiiEEENS7_IJiNS_17integral_constantIiLi1EEEEEELb0EEENS_11PassThroughIiEESF_EEENS7_IJNS_8SequenceIJLi0EEEENSH_IJLi1EEEENSH_IJLi2EEEEEEENS7_IJNSH_IJLi1ELi2EEEENSH_IJLi3EEEENSH_IJLi4EEEEEEENSH_IJLi3ELi4EEEElEESR_SR_Li1ELi256ELi256ELi256ELi128ELi32ELi8ELi8ELi16ELi16ELi8ELi2ENSH_IJLi4ELi64ELi1EEEENSH_IJLi1ELi0ELi2EEEEST_Li2ELi8ELi8ELb0ELi1ESS_ST_ST_Li2ELi8ELi8ELb0ELi1ELi1ELi1ENSH_IJLi1ELi32ELi1ELi8EEEELi4EEEDF16_DF16_S4_S4_S4_NS6_INS7_IJSD_SF_SF_NS_7UnMergeINS7_IJiNSA_IiLi8EEEEEELb0EEESF_EEENS7_IJSI_SJ_SK_SO_SN_EEENS7_IJSM_SN_SO_NSH_IJLi5ELi6EEEENSH_IJLi7EEEEEEENSH_IJLi5ELi7ELi6EEEElEES16_NS6_INS7_IJSD_SF_SF_NSW_INS7_IJiNSA_IiLi256EEEEEELb0EEENSW_INS7_IJiNSA_IiLi128EEEEEELb0EEEEEENS7_IJSI_SJ_SK_SN_SO_EEENS7_IJSM_SN_SO_S12_NSH_IJLi7ELi8EEEEEEENSH_IJLi5ELi6ELi7ELi8EEEElEENS_13TensorAdaptorINS7_IJNSW_ISC_Lb0EEES1K_NS_23Merge_v2_magic_divisionINS7_IJiiSB_SB_EEEEEEEENS7_IJSI_SJ_NSH_IJLi2ELi3ELi4ELi5EEEEEEENS7_IJNSH_IJLi2ELi4EEEENSH_IJLi3ELi5EEEENSH_IJLi6EEEEEEENSH_IJLi0ELi1EEEES1T_EELb0EEEvPKT0_S1Z_PT1_T2_T3_T4_T5_T6_T7_T8_,"axG",@progbits,_ZN2ck37kernel_gemm_xdl_waveletmodel_cshuffleINS_53GridwiseGemm_k0mk1_k0nk1_mn_xdl_waveletmodel_cshuffleIDF16_fDF16_DF16_NS_16tensor_operation12element_wise11PassThroughES4_S4_LNS_25InMemoryDataOperationEnumE0ENS_16TensorDescriptorINS_5TupleIJNS_5EmbedINS7_IJiiEEENS7_IJiNS_17integral_constantIiLi1EEEEEELb0EEENS_11PassThroughIiEESF_EEENS7_IJNS_8SequenceIJLi0EEEENSH_IJLi1EEEENSH_IJLi2EEEEEEENS7_IJNSH_IJLi1ELi2EEEENSH_IJLi3EEEENSH_IJLi4EEEEEEENSH_IJLi3ELi4EEEElEESR_SR_Li1ELi256ELi256ELi256ELi128ELi32ELi8ELi8ELi16ELi16ELi8ELi2ENSH_IJLi4ELi64ELi1EEEENSH_IJLi1ELi0ELi2EEEEST_Li2ELi8ELi8ELb0ELi1ESS_ST_ST_Li2ELi8ELi8ELb0ELi1ELi1ELi1ENSH_IJLi1ELi32ELi1ELi8EEEELi4EEEDF16_DF16_S4_S4_S4_NS6_INS7_IJSD_SF_SF_NS_7UnMergeINS7_IJiNSA_IiLi8EEEEEELb0EEESF_EEENS7_IJSI_SJ_SK_SO_SN_EEENS7_IJSM_SN_SO_NSH_IJLi5ELi6EEEENSH_IJLi7EEEEEEENSH_IJLi5ELi7ELi6EEEElEES16_NS6_INS7_IJSD_SF_SF_NSW_INS7_IJiNSA_IiLi256EEEEEELb0EEENSW_INS7_IJiNSA_IiLi128EEEEEELb0EEEEEENS7_IJSI_SJ_SK_SN_SO_EEENS7_IJSM_SN_SO_S12_NSH_IJLi7ELi8EEEEEEENSH_IJLi5ELi6ELi7ELi8EEEElEENS_13TensorAdaptorINS7_IJNSW_ISC_Lb0EEES1K_NS_23Merge_v2_magic_divisionINS7_IJiiSB_SB_EEEEEEEENS7_IJSI_SJ_NSH_IJLi2ELi3ELi4ELi5EEEEEEENS7_IJNSH_IJLi2ELi4EEEENSH_IJLi3ELi5EEEENSH_IJLi6EEEEEEENSH_IJLi0ELi1EEEES1T_EELb0EEEvPKT0_S1Z_PT1_T2_T3_T4_T5_T6_T7_T8_,comdat
	.protected	_ZN2ck37kernel_gemm_xdl_waveletmodel_cshuffleINS_53GridwiseGemm_k0mk1_k0nk1_mn_xdl_waveletmodel_cshuffleIDF16_fDF16_DF16_NS_16tensor_operation12element_wise11PassThroughES4_S4_LNS_25InMemoryDataOperationEnumE0ENS_16TensorDescriptorINS_5TupleIJNS_5EmbedINS7_IJiiEEENS7_IJiNS_17integral_constantIiLi1EEEEEELb0EEENS_11PassThroughIiEESF_EEENS7_IJNS_8SequenceIJLi0EEEENSH_IJLi1EEEENSH_IJLi2EEEEEEENS7_IJNSH_IJLi1ELi2EEEENSH_IJLi3EEEENSH_IJLi4EEEEEEENSH_IJLi3ELi4EEEElEESR_SR_Li1ELi256ELi256ELi256ELi128ELi32ELi8ELi8ELi16ELi16ELi8ELi2ENSH_IJLi4ELi64ELi1EEEENSH_IJLi1ELi0ELi2EEEEST_Li2ELi8ELi8ELb0ELi1ESS_ST_ST_Li2ELi8ELi8ELb0ELi1ELi1ELi1ENSH_IJLi1ELi32ELi1ELi8EEEELi4EEEDF16_DF16_S4_S4_S4_NS6_INS7_IJSD_SF_SF_NS_7UnMergeINS7_IJiNSA_IiLi8EEEEEELb0EEESF_EEENS7_IJSI_SJ_SK_SO_SN_EEENS7_IJSM_SN_SO_NSH_IJLi5ELi6EEEENSH_IJLi7EEEEEEENSH_IJLi5ELi7ELi6EEEElEES16_NS6_INS7_IJSD_SF_SF_NSW_INS7_IJiNSA_IiLi256EEEEEELb0EEENSW_INS7_IJiNSA_IiLi128EEEEEELb0EEEEEENS7_IJSI_SJ_SK_SN_SO_EEENS7_IJSM_SN_SO_S12_NSH_IJLi7ELi8EEEEEEENSH_IJLi5ELi6ELi7ELi8EEEElEENS_13TensorAdaptorINS7_IJNSW_ISC_Lb0EEES1K_NS_23Merge_v2_magic_divisionINS7_IJiiSB_SB_EEEEEEEENS7_IJSI_SJ_NSH_IJLi2ELi3ELi4ELi5EEEEEEENS7_IJNSH_IJLi2ELi4EEEENSH_IJLi3ELi5EEEENSH_IJLi6EEEEEEENSH_IJLi0ELi1EEEES1T_EELb0EEEvPKT0_S1Z_PT1_T2_T3_T4_T5_T6_T7_T8_ ; -- Begin function _ZN2ck37kernel_gemm_xdl_waveletmodel_cshuffleINS_53GridwiseGemm_k0mk1_k0nk1_mn_xdl_waveletmodel_cshuffleIDF16_fDF16_DF16_NS_16tensor_operation12element_wise11PassThroughES4_S4_LNS_25InMemoryDataOperationEnumE0ENS_16TensorDescriptorINS_5TupleIJNS_5EmbedINS7_IJiiEEENS7_IJiNS_17integral_constantIiLi1EEEEEELb0EEENS_11PassThroughIiEESF_EEENS7_IJNS_8SequenceIJLi0EEEENSH_IJLi1EEEENSH_IJLi2EEEEEEENS7_IJNSH_IJLi1ELi2EEEENSH_IJLi3EEEENSH_IJLi4EEEEEEENSH_IJLi3ELi4EEEElEESR_SR_Li1ELi256ELi256ELi256ELi128ELi32ELi8ELi8ELi16ELi16ELi8ELi2ENSH_IJLi4ELi64ELi1EEEENSH_IJLi1ELi0ELi2EEEEST_Li2ELi8ELi8ELb0ELi1ESS_ST_ST_Li2ELi8ELi8ELb0ELi1ELi1ELi1ENSH_IJLi1ELi32ELi1ELi8EEEELi4EEEDF16_DF16_S4_S4_S4_NS6_INS7_IJSD_SF_SF_NS_7UnMergeINS7_IJiNSA_IiLi8EEEEEELb0EEESF_EEENS7_IJSI_SJ_SK_SO_SN_EEENS7_IJSM_SN_SO_NSH_IJLi5ELi6EEEENSH_IJLi7EEEEEEENSH_IJLi5ELi7ELi6EEEElEES16_NS6_INS7_IJSD_SF_SF_NSW_INS7_IJiNSA_IiLi256EEEEEELb0EEENSW_INS7_IJiNSA_IiLi128EEEEEELb0EEEEEENS7_IJSI_SJ_SK_SN_SO_EEENS7_IJSM_SN_SO_S12_NSH_IJLi7ELi8EEEEEEENSH_IJLi5ELi6ELi7ELi8EEEElEENS_13TensorAdaptorINS7_IJNSW_ISC_Lb0EEES1K_NS_23Merge_v2_magic_divisionINS7_IJiiSB_SB_EEEEEEEENS7_IJSI_SJ_NSH_IJLi2ELi3ELi4ELi5EEEEEEENS7_IJNSH_IJLi2ELi4EEEENSH_IJLi3ELi5EEEENSH_IJLi6EEEEEEENSH_IJLi0ELi1EEEES1T_EELb0EEEvPKT0_S1Z_PT1_T2_T3_T4_T5_T6_T7_T8_
	.globl	_ZN2ck37kernel_gemm_xdl_waveletmodel_cshuffleINS_53GridwiseGemm_k0mk1_k0nk1_mn_xdl_waveletmodel_cshuffleIDF16_fDF16_DF16_NS_16tensor_operation12element_wise11PassThroughES4_S4_LNS_25InMemoryDataOperationEnumE0ENS_16TensorDescriptorINS_5TupleIJNS_5EmbedINS7_IJiiEEENS7_IJiNS_17integral_constantIiLi1EEEEEELb0EEENS_11PassThroughIiEESF_EEENS7_IJNS_8SequenceIJLi0EEEENSH_IJLi1EEEENSH_IJLi2EEEEEEENS7_IJNSH_IJLi1ELi2EEEENSH_IJLi3EEEENSH_IJLi4EEEEEEENSH_IJLi3ELi4EEEElEESR_SR_Li1ELi256ELi256ELi256ELi128ELi32ELi8ELi8ELi16ELi16ELi8ELi2ENSH_IJLi4ELi64ELi1EEEENSH_IJLi1ELi0ELi2EEEEST_Li2ELi8ELi8ELb0ELi1ESS_ST_ST_Li2ELi8ELi8ELb0ELi1ELi1ELi1ENSH_IJLi1ELi32ELi1ELi8EEEELi4EEEDF16_DF16_S4_S4_S4_NS6_INS7_IJSD_SF_SF_NS_7UnMergeINS7_IJiNSA_IiLi8EEEEEELb0EEESF_EEENS7_IJSI_SJ_SK_SO_SN_EEENS7_IJSM_SN_SO_NSH_IJLi5ELi6EEEENSH_IJLi7EEEEEEENSH_IJLi5ELi7ELi6EEEElEES16_NS6_INS7_IJSD_SF_SF_NSW_INS7_IJiNSA_IiLi256EEEEEELb0EEENSW_INS7_IJiNSA_IiLi128EEEEEELb0EEEEEENS7_IJSI_SJ_SK_SN_SO_EEENS7_IJSM_SN_SO_S12_NSH_IJLi7ELi8EEEEEEENSH_IJLi5ELi6ELi7ELi8EEEElEENS_13TensorAdaptorINS7_IJNSW_ISC_Lb0EEES1K_NS_23Merge_v2_magic_divisionINS7_IJiiSB_SB_EEEEEEEENS7_IJSI_SJ_NSH_IJLi2ELi3ELi4ELi5EEEEEEENS7_IJNSH_IJLi2ELi4EEEENSH_IJLi3ELi5EEEENSH_IJLi6EEEEEEENSH_IJLi0ELi1EEEES1T_EELb0EEEvPKT0_S1Z_PT1_T2_T3_T4_T5_T6_T7_T8_
	.p2align	8
	.type	_ZN2ck37kernel_gemm_xdl_waveletmodel_cshuffleINS_53GridwiseGemm_k0mk1_k0nk1_mn_xdl_waveletmodel_cshuffleIDF16_fDF16_DF16_NS_16tensor_operation12element_wise11PassThroughES4_S4_LNS_25InMemoryDataOperationEnumE0ENS_16TensorDescriptorINS_5TupleIJNS_5EmbedINS7_IJiiEEENS7_IJiNS_17integral_constantIiLi1EEEEEELb0EEENS_11PassThroughIiEESF_EEENS7_IJNS_8SequenceIJLi0EEEENSH_IJLi1EEEENSH_IJLi2EEEEEEENS7_IJNSH_IJLi1ELi2EEEENSH_IJLi3EEEENSH_IJLi4EEEEEEENSH_IJLi3ELi4EEEElEESR_SR_Li1ELi256ELi256ELi256ELi128ELi32ELi8ELi8ELi16ELi16ELi8ELi2ENSH_IJLi4ELi64ELi1EEEENSH_IJLi1ELi0ELi2EEEEST_Li2ELi8ELi8ELb0ELi1ESS_ST_ST_Li2ELi8ELi8ELb0ELi1ELi1ELi1ENSH_IJLi1ELi32ELi1ELi8EEEELi4EEEDF16_DF16_S4_S4_S4_NS6_INS7_IJSD_SF_SF_NS_7UnMergeINS7_IJiNSA_IiLi8EEEEEELb0EEESF_EEENS7_IJSI_SJ_SK_SO_SN_EEENS7_IJSM_SN_SO_NSH_IJLi5ELi6EEEENSH_IJLi7EEEEEEENSH_IJLi5ELi7ELi6EEEElEES16_NS6_INS7_IJSD_SF_SF_NSW_INS7_IJiNSA_IiLi256EEEEEELb0EEENSW_INS7_IJiNSA_IiLi128EEEEEELb0EEEEEENS7_IJSI_SJ_SK_SN_SO_EEENS7_IJSM_SN_SO_S12_NSH_IJLi7ELi8EEEEEEENSH_IJLi5ELi6ELi7ELi8EEEElEENS_13TensorAdaptorINS7_IJNSW_ISC_Lb0EEES1K_NS_23Merge_v2_magic_divisionINS7_IJiiSB_SB_EEEEEEEENS7_IJSI_SJ_NSH_IJLi2ELi3ELi4ELi5EEEEEEENS7_IJNSH_IJLi2ELi4EEEENSH_IJLi3ELi5EEEENSH_IJLi6EEEEEEENSH_IJLi0ELi1EEEES1T_EELb0EEEvPKT0_S1Z_PT1_T2_T3_T4_T5_T6_T7_T8_,@function
_ZN2ck37kernel_gemm_xdl_waveletmodel_cshuffleINS_53GridwiseGemm_k0mk1_k0nk1_mn_xdl_waveletmodel_cshuffleIDF16_fDF16_DF16_NS_16tensor_operation12element_wise11PassThroughES4_S4_LNS_25InMemoryDataOperationEnumE0ENS_16TensorDescriptorINS_5TupleIJNS_5EmbedINS7_IJiiEEENS7_IJiNS_17integral_constantIiLi1EEEEEELb0EEENS_11PassThroughIiEESF_EEENS7_IJNS_8SequenceIJLi0EEEENSH_IJLi1EEEENSH_IJLi2EEEEEEENS7_IJNSH_IJLi1ELi2EEEENSH_IJLi3EEEENSH_IJLi4EEEEEEENSH_IJLi3ELi4EEEElEESR_SR_Li1ELi256ELi256ELi256ELi128ELi32ELi8ELi8ELi16ELi16ELi8ELi2ENSH_IJLi4ELi64ELi1EEEENSH_IJLi1ELi0ELi2EEEEST_Li2ELi8ELi8ELb0ELi1ESS_ST_ST_Li2ELi8ELi8ELb0ELi1ELi1ELi1ENSH_IJLi1ELi32ELi1ELi8EEEELi4EEEDF16_DF16_S4_S4_S4_NS6_INS7_IJSD_SF_SF_NS_7UnMergeINS7_IJiNSA_IiLi8EEEEEELb0EEESF_EEENS7_IJSI_SJ_SK_SO_SN_EEENS7_IJSM_SN_SO_NSH_IJLi5ELi6EEEENSH_IJLi7EEEEEEENSH_IJLi5ELi7ELi6EEEElEES16_NS6_INS7_IJSD_SF_SF_NSW_INS7_IJiNSA_IiLi256EEEEEELb0EEENSW_INS7_IJiNSA_IiLi128EEEEEELb0EEEEEENS7_IJSI_SJ_SK_SN_SO_EEENS7_IJSM_SN_SO_S12_NSH_IJLi7ELi8EEEEEEENSH_IJLi5ELi6ELi7ELi8EEEElEENS_13TensorAdaptorINS7_IJNSW_ISC_Lb0EEES1K_NS_23Merge_v2_magic_divisionINS7_IJiiSB_SB_EEEEEEEENS7_IJSI_SJ_NSH_IJLi2ELi3ELi4ELi5EEEEEEENS7_IJNSH_IJLi2ELi4EEEENSH_IJLi3ELi5EEEENSH_IJLi6EEEEEEENSH_IJLi0ELi1EEEES1T_EELb0EEEvPKT0_S1Z_PT1_T2_T3_T4_T5_T6_T7_T8_: ; @_ZN2ck37kernel_gemm_xdl_waveletmodel_cshuffleINS_53GridwiseGemm_k0mk1_k0nk1_mn_xdl_waveletmodel_cshuffleIDF16_fDF16_DF16_NS_16tensor_operation12element_wise11PassThroughES4_S4_LNS_25InMemoryDataOperationEnumE0ENS_16TensorDescriptorINS_5TupleIJNS_5EmbedINS7_IJiiEEENS7_IJiNS_17integral_constantIiLi1EEEEEELb0EEENS_11PassThroughIiEESF_EEENS7_IJNS_8SequenceIJLi0EEEENSH_IJLi1EEEENSH_IJLi2EEEEEEENS7_IJNSH_IJLi1ELi2EEEENSH_IJLi3EEEENSH_IJLi4EEEEEEENSH_IJLi3ELi4EEEElEESR_SR_Li1ELi256ELi256ELi256ELi128ELi32ELi8ELi8ELi16ELi16ELi8ELi2ENSH_IJLi4ELi64ELi1EEEENSH_IJLi1ELi0ELi2EEEEST_Li2ELi8ELi8ELb0ELi1ESS_ST_ST_Li2ELi8ELi8ELb0ELi1ELi1ELi1ENSH_IJLi1ELi32ELi1ELi8EEEELi4EEEDF16_DF16_S4_S4_S4_NS6_INS7_IJSD_SF_SF_NS_7UnMergeINS7_IJiNSA_IiLi8EEEEEELb0EEESF_EEENS7_IJSI_SJ_SK_SO_SN_EEENS7_IJSM_SN_SO_NSH_IJLi5ELi6EEEENSH_IJLi7EEEEEEENSH_IJLi5ELi7ELi6EEEElEES16_NS6_INS7_IJSD_SF_SF_NSW_INS7_IJiNSA_IiLi256EEEEEELb0EEENSW_INS7_IJiNSA_IiLi128EEEEEELb0EEEEEENS7_IJSI_SJ_SK_SN_SO_EEENS7_IJSM_SN_SO_S12_NSH_IJLi7ELi8EEEEEEENSH_IJLi5ELi6ELi7ELi8EEEElEENS_13TensorAdaptorINS7_IJNSW_ISC_Lb0EEES1K_NS_23Merge_v2_magic_divisionINS7_IJiiSB_SB_EEEEEEEENS7_IJSI_SJ_NSH_IJLi2ELi3ELi4ELi5EEEEEEENS7_IJNSH_IJLi2ELi4EEEENSH_IJLi3ELi5EEEENSH_IJLi6EEEEEEENSH_IJLi0ELi1EEEES1T_EELb0EEEvPKT0_S1Z_PT1_T2_T3_T4_T5_T6_T7_T8_
; %bb.0:
	s_endpgm
	.section	.rodata,"a",@progbits
	.p2align	6, 0x0
	.amdhsa_kernel _ZN2ck37kernel_gemm_xdl_waveletmodel_cshuffleINS_53GridwiseGemm_k0mk1_k0nk1_mn_xdl_waveletmodel_cshuffleIDF16_fDF16_DF16_NS_16tensor_operation12element_wise11PassThroughES4_S4_LNS_25InMemoryDataOperationEnumE0ENS_16TensorDescriptorINS_5TupleIJNS_5EmbedINS7_IJiiEEENS7_IJiNS_17integral_constantIiLi1EEEEEELb0EEENS_11PassThroughIiEESF_EEENS7_IJNS_8SequenceIJLi0EEEENSH_IJLi1EEEENSH_IJLi2EEEEEEENS7_IJNSH_IJLi1ELi2EEEENSH_IJLi3EEEENSH_IJLi4EEEEEEENSH_IJLi3ELi4EEEElEESR_SR_Li1ELi256ELi256ELi256ELi128ELi32ELi8ELi8ELi16ELi16ELi8ELi2ENSH_IJLi4ELi64ELi1EEEENSH_IJLi1ELi0ELi2EEEEST_Li2ELi8ELi8ELb0ELi1ESS_ST_ST_Li2ELi8ELi8ELb0ELi1ELi1ELi1ENSH_IJLi1ELi32ELi1ELi8EEEELi4EEEDF16_DF16_S4_S4_S4_NS6_INS7_IJSD_SF_SF_NS_7UnMergeINS7_IJiNSA_IiLi8EEEEEELb0EEESF_EEENS7_IJSI_SJ_SK_SO_SN_EEENS7_IJSM_SN_SO_NSH_IJLi5ELi6EEEENSH_IJLi7EEEEEEENSH_IJLi5ELi7ELi6EEEElEES16_NS6_INS7_IJSD_SF_SF_NSW_INS7_IJiNSA_IiLi256EEEEEELb0EEENSW_INS7_IJiNSA_IiLi128EEEEEELb0EEEEEENS7_IJSI_SJ_SK_SN_SO_EEENS7_IJSM_SN_SO_S12_NSH_IJLi7ELi8EEEEEEENSH_IJLi5ELi6ELi7ELi8EEEElEENS_13TensorAdaptorINS7_IJNSW_ISC_Lb0EEES1K_NS_23Merge_v2_magic_divisionINS7_IJiiSB_SB_EEEEEEEENS7_IJSI_SJ_NSH_IJLi2ELi3ELi4ELi5EEEEEEENS7_IJNSH_IJLi2ELi4EEEENSH_IJLi3ELi5EEEENSH_IJLi6EEEEEEENSH_IJLi0ELi1EEEES1T_EELb0EEEvPKT0_S1Z_PT1_T2_T3_T4_T5_T6_T7_T8_
		.amdhsa_group_segment_fixed_size 0
		.amdhsa_private_segment_fixed_size 0
		.amdhsa_kernarg_size 276
		.amdhsa_user_sgpr_count 2
		.amdhsa_user_sgpr_dispatch_ptr 0
		.amdhsa_user_sgpr_queue_ptr 0
		.amdhsa_user_sgpr_kernarg_segment_ptr 1
		.amdhsa_user_sgpr_dispatch_id 0
		.amdhsa_user_sgpr_kernarg_preload_length 0
		.amdhsa_user_sgpr_kernarg_preload_offset 0
		.amdhsa_user_sgpr_private_segment_size 0
		.amdhsa_uses_dynamic_stack 0
		.amdhsa_enable_private_segment 0
		.amdhsa_system_sgpr_workgroup_id_x 1
		.amdhsa_system_sgpr_workgroup_id_y 0
		.amdhsa_system_sgpr_workgroup_id_z 0
		.amdhsa_system_sgpr_workgroup_info 0
		.amdhsa_system_vgpr_workitem_id 0
		.amdhsa_next_free_vgpr 1
		.amdhsa_next_free_sgpr 0
		.amdhsa_accum_offset 4
		.amdhsa_reserve_vcc 0
		.amdhsa_float_round_mode_32 0
		.amdhsa_float_round_mode_16_64 0
		.amdhsa_float_denorm_mode_32 3
		.amdhsa_float_denorm_mode_16_64 3
		.amdhsa_dx10_clamp 1
		.amdhsa_ieee_mode 1
		.amdhsa_fp16_overflow 0
		.amdhsa_tg_split 0
		.amdhsa_exception_fp_ieee_invalid_op 0
		.amdhsa_exception_fp_denorm_src 0
		.amdhsa_exception_fp_ieee_div_zero 0
		.amdhsa_exception_fp_ieee_overflow 0
		.amdhsa_exception_fp_ieee_underflow 0
		.amdhsa_exception_fp_ieee_inexact 0
		.amdhsa_exception_int_div_zero 0
	.end_amdhsa_kernel
	.section	.text._ZN2ck37kernel_gemm_xdl_waveletmodel_cshuffleINS_53GridwiseGemm_k0mk1_k0nk1_mn_xdl_waveletmodel_cshuffleIDF16_fDF16_DF16_NS_16tensor_operation12element_wise11PassThroughES4_S4_LNS_25InMemoryDataOperationEnumE0ENS_16TensorDescriptorINS_5TupleIJNS_5EmbedINS7_IJiiEEENS7_IJiNS_17integral_constantIiLi1EEEEEELb0EEENS_11PassThroughIiEESF_EEENS7_IJNS_8SequenceIJLi0EEEENSH_IJLi1EEEENSH_IJLi2EEEEEEENS7_IJNSH_IJLi1ELi2EEEENSH_IJLi3EEEENSH_IJLi4EEEEEEENSH_IJLi3ELi4EEEElEESR_SR_Li1ELi256ELi256ELi256ELi128ELi32ELi8ELi8ELi16ELi16ELi8ELi2ENSH_IJLi4ELi64ELi1EEEENSH_IJLi1ELi0ELi2EEEEST_Li2ELi8ELi8ELb0ELi1ESS_ST_ST_Li2ELi8ELi8ELb0ELi1ELi1ELi1ENSH_IJLi1ELi32ELi1ELi8EEEELi4EEEDF16_DF16_S4_S4_S4_NS6_INS7_IJSD_SF_SF_NS_7UnMergeINS7_IJiNSA_IiLi8EEEEEELb0EEESF_EEENS7_IJSI_SJ_SK_SO_SN_EEENS7_IJSM_SN_SO_NSH_IJLi5ELi6EEEENSH_IJLi7EEEEEEENSH_IJLi5ELi7ELi6EEEElEES16_NS6_INS7_IJSD_SF_SF_NSW_INS7_IJiNSA_IiLi256EEEEEELb0EEENSW_INS7_IJiNSA_IiLi128EEEEEELb0EEEEEENS7_IJSI_SJ_SK_SN_SO_EEENS7_IJSM_SN_SO_S12_NSH_IJLi7ELi8EEEEEEENSH_IJLi5ELi6ELi7ELi8EEEElEENS_13TensorAdaptorINS7_IJNSW_ISC_Lb0EEES1K_NS_23Merge_v2_magic_divisionINS7_IJiiSB_SB_EEEEEEEENS7_IJSI_SJ_NSH_IJLi2ELi3ELi4ELi5EEEEEEENS7_IJNSH_IJLi2ELi4EEEENSH_IJLi3ELi5EEEENSH_IJLi6EEEEEEENSH_IJLi0ELi1EEEES1T_EELb0EEEvPKT0_S1Z_PT1_T2_T3_T4_T5_T6_T7_T8_,"axG",@progbits,_ZN2ck37kernel_gemm_xdl_waveletmodel_cshuffleINS_53GridwiseGemm_k0mk1_k0nk1_mn_xdl_waveletmodel_cshuffleIDF16_fDF16_DF16_NS_16tensor_operation12element_wise11PassThroughES4_S4_LNS_25InMemoryDataOperationEnumE0ENS_16TensorDescriptorINS_5TupleIJNS_5EmbedINS7_IJiiEEENS7_IJiNS_17integral_constantIiLi1EEEEEELb0EEENS_11PassThroughIiEESF_EEENS7_IJNS_8SequenceIJLi0EEEENSH_IJLi1EEEENSH_IJLi2EEEEEEENS7_IJNSH_IJLi1ELi2EEEENSH_IJLi3EEEENSH_IJLi4EEEEEEENSH_IJLi3ELi4EEEElEESR_SR_Li1ELi256ELi256ELi256ELi128ELi32ELi8ELi8ELi16ELi16ELi8ELi2ENSH_IJLi4ELi64ELi1EEEENSH_IJLi1ELi0ELi2EEEEST_Li2ELi8ELi8ELb0ELi1ESS_ST_ST_Li2ELi8ELi8ELb0ELi1ELi1ELi1ENSH_IJLi1ELi32ELi1ELi8EEEELi4EEEDF16_DF16_S4_S4_S4_NS6_INS7_IJSD_SF_SF_NS_7UnMergeINS7_IJiNSA_IiLi8EEEEEELb0EEESF_EEENS7_IJSI_SJ_SK_SO_SN_EEENS7_IJSM_SN_SO_NSH_IJLi5ELi6EEEENSH_IJLi7EEEEEEENSH_IJLi5ELi7ELi6EEEElEES16_NS6_INS7_IJSD_SF_SF_NSW_INS7_IJiNSA_IiLi256EEEEEELb0EEENSW_INS7_IJiNSA_IiLi128EEEEEELb0EEEEEENS7_IJSI_SJ_SK_SN_SO_EEENS7_IJSM_SN_SO_S12_NSH_IJLi7ELi8EEEEEEENSH_IJLi5ELi6ELi7ELi8EEEElEENS_13TensorAdaptorINS7_IJNSW_ISC_Lb0EEES1K_NS_23Merge_v2_magic_divisionINS7_IJiiSB_SB_EEEEEEEENS7_IJSI_SJ_NSH_IJLi2ELi3ELi4ELi5EEEEEEENS7_IJNSH_IJLi2ELi4EEEENSH_IJLi3ELi5EEEENSH_IJLi6EEEEEEENSH_IJLi0ELi1EEEES1T_EELb0EEEvPKT0_S1Z_PT1_T2_T3_T4_T5_T6_T7_T8_,comdat
.Lfunc_end4:
	.size	_ZN2ck37kernel_gemm_xdl_waveletmodel_cshuffleINS_53GridwiseGemm_k0mk1_k0nk1_mn_xdl_waveletmodel_cshuffleIDF16_fDF16_DF16_NS_16tensor_operation12element_wise11PassThroughES4_S4_LNS_25InMemoryDataOperationEnumE0ENS_16TensorDescriptorINS_5TupleIJNS_5EmbedINS7_IJiiEEENS7_IJiNS_17integral_constantIiLi1EEEEEELb0EEENS_11PassThroughIiEESF_EEENS7_IJNS_8SequenceIJLi0EEEENSH_IJLi1EEEENSH_IJLi2EEEEEEENS7_IJNSH_IJLi1ELi2EEEENSH_IJLi3EEEENSH_IJLi4EEEEEEENSH_IJLi3ELi4EEEElEESR_SR_Li1ELi256ELi256ELi256ELi128ELi32ELi8ELi8ELi16ELi16ELi8ELi2ENSH_IJLi4ELi64ELi1EEEENSH_IJLi1ELi0ELi2EEEEST_Li2ELi8ELi8ELb0ELi1ESS_ST_ST_Li2ELi8ELi8ELb0ELi1ELi1ELi1ENSH_IJLi1ELi32ELi1ELi8EEEELi4EEEDF16_DF16_S4_S4_S4_NS6_INS7_IJSD_SF_SF_NS_7UnMergeINS7_IJiNSA_IiLi8EEEEEELb0EEESF_EEENS7_IJSI_SJ_SK_SO_SN_EEENS7_IJSM_SN_SO_NSH_IJLi5ELi6EEEENSH_IJLi7EEEEEEENSH_IJLi5ELi7ELi6EEEElEES16_NS6_INS7_IJSD_SF_SF_NSW_INS7_IJiNSA_IiLi256EEEEEELb0EEENSW_INS7_IJiNSA_IiLi128EEEEEELb0EEEEEENS7_IJSI_SJ_SK_SN_SO_EEENS7_IJSM_SN_SO_S12_NSH_IJLi7ELi8EEEEEEENSH_IJLi5ELi6ELi7ELi8EEEElEENS_13TensorAdaptorINS7_IJNSW_ISC_Lb0EEES1K_NS_23Merge_v2_magic_divisionINS7_IJiiSB_SB_EEEEEEEENS7_IJSI_SJ_NSH_IJLi2ELi3ELi4ELi5EEEEEEENS7_IJNSH_IJLi2ELi4EEEENSH_IJLi3ELi5EEEENSH_IJLi6EEEEEEENSH_IJLi0ELi1EEEES1T_EELb0EEEvPKT0_S1Z_PT1_T2_T3_T4_T5_T6_T7_T8_, .Lfunc_end4-_ZN2ck37kernel_gemm_xdl_waveletmodel_cshuffleINS_53GridwiseGemm_k0mk1_k0nk1_mn_xdl_waveletmodel_cshuffleIDF16_fDF16_DF16_NS_16tensor_operation12element_wise11PassThroughES4_S4_LNS_25InMemoryDataOperationEnumE0ENS_16TensorDescriptorINS_5TupleIJNS_5EmbedINS7_IJiiEEENS7_IJiNS_17integral_constantIiLi1EEEEEELb0EEENS_11PassThroughIiEESF_EEENS7_IJNS_8SequenceIJLi0EEEENSH_IJLi1EEEENSH_IJLi2EEEEEEENS7_IJNSH_IJLi1ELi2EEEENSH_IJLi3EEEENSH_IJLi4EEEEEEENSH_IJLi3ELi4EEEElEESR_SR_Li1ELi256ELi256ELi256ELi128ELi32ELi8ELi8ELi16ELi16ELi8ELi2ENSH_IJLi4ELi64ELi1EEEENSH_IJLi1ELi0ELi2EEEEST_Li2ELi8ELi8ELb0ELi1ESS_ST_ST_Li2ELi8ELi8ELb0ELi1ELi1ELi1ENSH_IJLi1ELi32ELi1ELi8EEEELi4EEEDF16_DF16_S4_S4_S4_NS6_INS7_IJSD_SF_SF_NS_7UnMergeINS7_IJiNSA_IiLi8EEEEEELb0EEESF_EEENS7_IJSI_SJ_SK_SO_SN_EEENS7_IJSM_SN_SO_NSH_IJLi5ELi6EEEENSH_IJLi7EEEEEEENSH_IJLi5ELi7ELi6EEEElEES16_NS6_INS7_IJSD_SF_SF_NSW_INS7_IJiNSA_IiLi256EEEEEELb0EEENSW_INS7_IJiNSA_IiLi128EEEEEELb0EEEEEENS7_IJSI_SJ_SK_SN_SO_EEENS7_IJSM_SN_SO_S12_NSH_IJLi7ELi8EEEEEEENSH_IJLi5ELi6ELi7ELi8EEEElEENS_13TensorAdaptorINS7_IJNSW_ISC_Lb0EEES1K_NS_23Merge_v2_magic_divisionINS7_IJiiSB_SB_EEEEEEEENS7_IJSI_SJ_NSH_IJLi2ELi3ELi4ELi5EEEEEEENS7_IJNSH_IJLi2ELi4EEEENSH_IJLi3ELi5EEEENSH_IJLi6EEEEEEENSH_IJLi0ELi1EEEES1T_EELb0EEEvPKT0_S1Z_PT1_T2_T3_T4_T5_T6_T7_T8_
                                        ; -- End function
	.set _ZN2ck37kernel_gemm_xdl_waveletmodel_cshuffleINS_53GridwiseGemm_k0mk1_k0nk1_mn_xdl_waveletmodel_cshuffleIDF16_fDF16_DF16_NS_16tensor_operation12element_wise11PassThroughES4_S4_LNS_25InMemoryDataOperationEnumE0ENS_16TensorDescriptorINS_5TupleIJNS_5EmbedINS7_IJiiEEENS7_IJiNS_17integral_constantIiLi1EEEEEELb0EEENS_11PassThroughIiEESF_EEENS7_IJNS_8SequenceIJLi0EEEENSH_IJLi1EEEENSH_IJLi2EEEEEEENS7_IJNSH_IJLi1ELi2EEEENSH_IJLi3EEEENSH_IJLi4EEEEEEENSH_IJLi3ELi4EEEElEESR_SR_Li1ELi256ELi256ELi256ELi128ELi32ELi8ELi8ELi16ELi16ELi8ELi2ENSH_IJLi4ELi64ELi1EEEENSH_IJLi1ELi0ELi2EEEEST_Li2ELi8ELi8ELb0ELi1ESS_ST_ST_Li2ELi8ELi8ELb0ELi1ELi1ELi1ENSH_IJLi1ELi32ELi1ELi8EEEELi4EEEDF16_DF16_S4_S4_S4_NS6_INS7_IJSD_SF_SF_NS_7UnMergeINS7_IJiNSA_IiLi8EEEEEELb0EEESF_EEENS7_IJSI_SJ_SK_SO_SN_EEENS7_IJSM_SN_SO_NSH_IJLi5ELi6EEEENSH_IJLi7EEEEEEENSH_IJLi5ELi7ELi6EEEElEES16_NS6_INS7_IJSD_SF_SF_NSW_INS7_IJiNSA_IiLi256EEEEEELb0EEENSW_INS7_IJiNSA_IiLi128EEEEEELb0EEEEEENS7_IJSI_SJ_SK_SN_SO_EEENS7_IJSM_SN_SO_S12_NSH_IJLi7ELi8EEEEEEENSH_IJLi5ELi6ELi7ELi8EEEElEENS_13TensorAdaptorINS7_IJNSW_ISC_Lb0EEES1K_NS_23Merge_v2_magic_divisionINS7_IJiiSB_SB_EEEEEEEENS7_IJSI_SJ_NSH_IJLi2ELi3ELi4ELi5EEEEEEENS7_IJNSH_IJLi2ELi4EEEENSH_IJLi3ELi5EEEENSH_IJLi6EEEEEEENSH_IJLi0ELi1EEEES1T_EELb0EEEvPKT0_S1Z_PT1_T2_T3_T4_T5_T6_T7_T8_.num_vgpr, 0
	.set _ZN2ck37kernel_gemm_xdl_waveletmodel_cshuffleINS_53GridwiseGemm_k0mk1_k0nk1_mn_xdl_waveletmodel_cshuffleIDF16_fDF16_DF16_NS_16tensor_operation12element_wise11PassThroughES4_S4_LNS_25InMemoryDataOperationEnumE0ENS_16TensorDescriptorINS_5TupleIJNS_5EmbedINS7_IJiiEEENS7_IJiNS_17integral_constantIiLi1EEEEEELb0EEENS_11PassThroughIiEESF_EEENS7_IJNS_8SequenceIJLi0EEEENSH_IJLi1EEEENSH_IJLi2EEEEEEENS7_IJNSH_IJLi1ELi2EEEENSH_IJLi3EEEENSH_IJLi4EEEEEEENSH_IJLi3ELi4EEEElEESR_SR_Li1ELi256ELi256ELi256ELi128ELi32ELi8ELi8ELi16ELi16ELi8ELi2ENSH_IJLi4ELi64ELi1EEEENSH_IJLi1ELi0ELi2EEEEST_Li2ELi8ELi8ELb0ELi1ESS_ST_ST_Li2ELi8ELi8ELb0ELi1ELi1ELi1ENSH_IJLi1ELi32ELi1ELi8EEEELi4EEEDF16_DF16_S4_S4_S4_NS6_INS7_IJSD_SF_SF_NS_7UnMergeINS7_IJiNSA_IiLi8EEEEEELb0EEESF_EEENS7_IJSI_SJ_SK_SO_SN_EEENS7_IJSM_SN_SO_NSH_IJLi5ELi6EEEENSH_IJLi7EEEEEEENSH_IJLi5ELi7ELi6EEEElEES16_NS6_INS7_IJSD_SF_SF_NSW_INS7_IJiNSA_IiLi256EEEEEELb0EEENSW_INS7_IJiNSA_IiLi128EEEEEELb0EEEEEENS7_IJSI_SJ_SK_SN_SO_EEENS7_IJSM_SN_SO_S12_NSH_IJLi7ELi8EEEEEEENSH_IJLi5ELi6ELi7ELi8EEEElEENS_13TensorAdaptorINS7_IJNSW_ISC_Lb0EEES1K_NS_23Merge_v2_magic_divisionINS7_IJiiSB_SB_EEEEEEEENS7_IJSI_SJ_NSH_IJLi2ELi3ELi4ELi5EEEEEEENS7_IJNSH_IJLi2ELi4EEEENSH_IJLi3ELi5EEEENSH_IJLi6EEEEEEENSH_IJLi0ELi1EEEES1T_EELb0EEEvPKT0_S1Z_PT1_T2_T3_T4_T5_T6_T7_T8_.num_agpr, 0
	.set _ZN2ck37kernel_gemm_xdl_waveletmodel_cshuffleINS_53GridwiseGemm_k0mk1_k0nk1_mn_xdl_waveletmodel_cshuffleIDF16_fDF16_DF16_NS_16tensor_operation12element_wise11PassThroughES4_S4_LNS_25InMemoryDataOperationEnumE0ENS_16TensorDescriptorINS_5TupleIJNS_5EmbedINS7_IJiiEEENS7_IJiNS_17integral_constantIiLi1EEEEEELb0EEENS_11PassThroughIiEESF_EEENS7_IJNS_8SequenceIJLi0EEEENSH_IJLi1EEEENSH_IJLi2EEEEEEENS7_IJNSH_IJLi1ELi2EEEENSH_IJLi3EEEENSH_IJLi4EEEEEEENSH_IJLi3ELi4EEEElEESR_SR_Li1ELi256ELi256ELi256ELi128ELi32ELi8ELi8ELi16ELi16ELi8ELi2ENSH_IJLi4ELi64ELi1EEEENSH_IJLi1ELi0ELi2EEEEST_Li2ELi8ELi8ELb0ELi1ESS_ST_ST_Li2ELi8ELi8ELb0ELi1ELi1ELi1ENSH_IJLi1ELi32ELi1ELi8EEEELi4EEEDF16_DF16_S4_S4_S4_NS6_INS7_IJSD_SF_SF_NS_7UnMergeINS7_IJiNSA_IiLi8EEEEEELb0EEESF_EEENS7_IJSI_SJ_SK_SO_SN_EEENS7_IJSM_SN_SO_NSH_IJLi5ELi6EEEENSH_IJLi7EEEEEEENSH_IJLi5ELi7ELi6EEEElEES16_NS6_INS7_IJSD_SF_SF_NSW_INS7_IJiNSA_IiLi256EEEEEELb0EEENSW_INS7_IJiNSA_IiLi128EEEEEELb0EEEEEENS7_IJSI_SJ_SK_SN_SO_EEENS7_IJSM_SN_SO_S12_NSH_IJLi7ELi8EEEEEEENSH_IJLi5ELi6ELi7ELi8EEEElEENS_13TensorAdaptorINS7_IJNSW_ISC_Lb0EEES1K_NS_23Merge_v2_magic_divisionINS7_IJiiSB_SB_EEEEEEEENS7_IJSI_SJ_NSH_IJLi2ELi3ELi4ELi5EEEEEEENS7_IJNSH_IJLi2ELi4EEEENSH_IJLi3ELi5EEEENSH_IJLi6EEEEEEENSH_IJLi0ELi1EEEES1T_EELb0EEEvPKT0_S1Z_PT1_T2_T3_T4_T5_T6_T7_T8_.numbered_sgpr, 0
	.set _ZN2ck37kernel_gemm_xdl_waveletmodel_cshuffleINS_53GridwiseGemm_k0mk1_k0nk1_mn_xdl_waveletmodel_cshuffleIDF16_fDF16_DF16_NS_16tensor_operation12element_wise11PassThroughES4_S4_LNS_25InMemoryDataOperationEnumE0ENS_16TensorDescriptorINS_5TupleIJNS_5EmbedINS7_IJiiEEENS7_IJiNS_17integral_constantIiLi1EEEEEELb0EEENS_11PassThroughIiEESF_EEENS7_IJNS_8SequenceIJLi0EEEENSH_IJLi1EEEENSH_IJLi2EEEEEEENS7_IJNSH_IJLi1ELi2EEEENSH_IJLi3EEEENSH_IJLi4EEEEEEENSH_IJLi3ELi4EEEElEESR_SR_Li1ELi256ELi256ELi256ELi128ELi32ELi8ELi8ELi16ELi16ELi8ELi2ENSH_IJLi4ELi64ELi1EEEENSH_IJLi1ELi0ELi2EEEEST_Li2ELi8ELi8ELb0ELi1ESS_ST_ST_Li2ELi8ELi8ELb0ELi1ELi1ELi1ENSH_IJLi1ELi32ELi1ELi8EEEELi4EEEDF16_DF16_S4_S4_S4_NS6_INS7_IJSD_SF_SF_NS_7UnMergeINS7_IJiNSA_IiLi8EEEEEELb0EEESF_EEENS7_IJSI_SJ_SK_SO_SN_EEENS7_IJSM_SN_SO_NSH_IJLi5ELi6EEEENSH_IJLi7EEEEEEENSH_IJLi5ELi7ELi6EEEElEES16_NS6_INS7_IJSD_SF_SF_NSW_INS7_IJiNSA_IiLi256EEEEEELb0EEENSW_INS7_IJiNSA_IiLi128EEEEEELb0EEEEEENS7_IJSI_SJ_SK_SN_SO_EEENS7_IJSM_SN_SO_S12_NSH_IJLi7ELi8EEEEEEENSH_IJLi5ELi6ELi7ELi8EEEElEENS_13TensorAdaptorINS7_IJNSW_ISC_Lb0EEES1K_NS_23Merge_v2_magic_divisionINS7_IJiiSB_SB_EEEEEEEENS7_IJSI_SJ_NSH_IJLi2ELi3ELi4ELi5EEEEEEENS7_IJNSH_IJLi2ELi4EEEENSH_IJLi3ELi5EEEENSH_IJLi6EEEEEEENSH_IJLi0ELi1EEEES1T_EELb0EEEvPKT0_S1Z_PT1_T2_T3_T4_T5_T6_T7_T8_.num_named_barrier, 0
	.set _ZN2ck37kernel_gemm_xdl_waveletmodel_cshuffleINS_53GridwiseGemm_k0mk1_k0nk1_mn_xdl_waveletmodel_cshuffleIDF16_fDF16_DF16_NS_16tensor_operation12element_wise11PassThroughES4_S4_LNS_25InMemoryDataOperationEnumE0ENS_16TensorDescriptorINS_5TupleIJNS_5EmbedINS7_IJiiEEENS7_IJiNS_17integral_constantIiLi1EEEEEELb0EEENS_11PassThroughIiEESF_EEENS7_IJNS_8SequenceIJLi0EEEENSH_IJLi1EEEENSH_IJLi2EEEEEEENS7_IJNSH_IJLi1ELi2EEEENSH_IJLi3EEEENSH_IJLi4EEEEEEENSH_IJLi3ELi4EEEElEESR_SR_Li1ELi256ELi256ELi256ELi128ELi32ELi8ELi8ELi16ELi16ELi8ELi2ENSH_IJLi4ELi64ELi1EEEENSH_IJLi1ELi0ELi2EEEEST_Li2ELi8ELi8ELb0ELi1ESS_ST_ST_Li2ELi8ELi8ELb0ELi1ELi1ELi1ENSH_IJLi1ELi32ELi1ELi8EEEELi4EEEDF16_DF16_S4_S4_S4_NS6_INS7_IJSD_SF_SF_NS_7UnMergeINS7_IJiNSA_IiLi8EEEEEELb0EEESF_EEENS7_IJSI_SJ_SK_SO_SN_EEENS7_IJSM_SN_SO_NSH_IJLi5ELi6EEEENSH_IJLi7EEEEEEENSH_IJLi5ELi7ELi6EEEElEES16_NS6_INS7_IJSD_SF_SF_NSW_INS7_IJiNSA_IiLi256EEEEEELb0EEENSW_INS7_IJiNSA_IiLi128EEEEEELb0EEEEEENS7_IJSI_SJ_SK_SN_SO_EEENS7_IJSM_SN_SO_S12_NSH_IJLi7ELi8EEEEEEENSH_IJLi5ELi6ELi7ELi8EEEElEENS_13TensorAdaptorINS7_IJNSW_ISC_Lb0EEES1K_NS_23Merge_v2_magic_divisionINS7_IJiiSB_SB_EEEEEEEENS7_IJSI_SJ_NSH_IJLi2ELi3ELi4ELi5EEEEEEENS7_IJNSH_IJLi2ELi4EEEENSH_IJLi3ELi5EEEENSH_IJLi6EEEEEEENSH_IJLi0ELi1EEEES1T_EELb0EEEvPKT0_S1Z_PT1_T2_T3_T4_T5_T6_T7_T8_.private_seg_size, 0
	.set _ZN2ck37kernel_gemm_xdl_waveletmodel_cshuffleINS_53GridwiseGemm_k0mk1_k0nk1_mn_xdl_waveletmodel_cshuffleIDF16_fDF16_DF16_NS_16tensor_operation12element_wise11PassThroughES4_S4_LNS_25InMemoryDataOperationEnumE0ENS_16TensorDescriptorINS_5TupleIJNS_5EmbedINS7_IJiiEEENS7_IJiNS_17integral_constantIiLi1EEEEEELb0EEENS_11PassThroughIiEESF_EEENS7_IJNS_8SequenceIJLi0EEEENSH_IJLi1EEEENSH_IJLi2EEEEEEENS7_IJNSH_IJLi1ELi2EEEENSH_IJLi3EEEENSH_IJLi4EEEEEEENSH_IJLi3ELi4EEEElEESR_SR_Li1ELi256ELi256ELi256ELi128ELi32ELi8ELi8ELi16ELi16ELi8ELi2ENSH_IJLi4ELi64ELi1EEEENSH_IJLi1ELi0ELi2EEEEST_Li2ELi8ELi8ELb0ELi1ESS_ST_ST_Li2ELi8ELi8ELb0ELi1ELi1ELi1ENSH_IJLi1ELi32ELi1ELi8EEEELi4EEEDF16_DF16_S4_S4_S4_NS6_INS7_IJSD_SF_SF_NS_7UnMergeINS7_IJiNSA_IiLi8EEEEEELb0EEESF_EEENS7_IJSI_SJ_SK_SO_SN_EEENS7_IJSM_SN_SO_NSH_IJLi5ELi6EEEENSH_IJLi7EEEEEEENSH_IJLi5ELi7ELi6EEEElEES16_NS6_INS7_IJSD_SF_SF_NSW_INS7_IJiNSA_IiLi256EEEEEELb0EEENSW_INS7_IJiNSA_IiLi128EEEEEELb0EEEEEENS7_IJSI_SJ_SK_SN_SO_EEENS7_IJSM_SN_SO_S12_NSH_IJLi7ELi8EEEEEEENSH_IJLi5ELi6ELi7ELi8EEEElEENS_13TensorAdaptorINS7_IJNSW_ISC_Lb0EEES1K_NS_23Merge_v2_magic_divisionINS7_IJiiSB_SB_EEEEEEEENS7_IJSI_SJ_NSH_IJLi2ELi3ELi4ELi5EEEEEEENS7_IJNSH_IJLi2ELi4EEEENSH_IJLi3ELi5EEEENSH_IJLi6EEEEEEENSH_IJLi0ELi1EEEES1T_EELb0EEEvPKT0_S1Z_PT1_T2_T3_T4_T5_T6_T7_T8_.uses_vcc, 0
	.set _ZN2ck37kernel_gemm_xdl_waveletmodel_cshuffleINS_53GridwiseGemm_k0mk1_k0nk1_mn_xdl_waveletmodel_cshuffleIDF16_fDF16_DF16_NS_16tensor_operation12element_wise11PassThroughES4_S4_LNS_25InMemoryDataOperationEnumE0ENS_16TensorDescriptorINS_5TupleIJNS_5EmbedINS7_IJiiEEENS7_IJiNS_17integral_constantIiLi1EEEEEELb0EEENS_11PassThroughIiEESF_EEENS7_IJNS_8SequenceIJLi0EEEENSH_IJLi1EEEENSH_IJLi2EEEEEEENS7_IJNSH_IJLi1ELi2EEEENSH_IJLi3EEEENSH_IJLi4EEEEEEENSH_IJLi3ELi4EEEElEESR_SR_Li1ELi256ELi256ELi256ELi128ELi32ELi8ELi8ELi16ELi16ELi8ELi2ENSH_IJLi4ELi64ELi1EEEENSH_IJLi1ELi0ELi2EEEEST_Li2ELi8ELi8ELb0ELi1ESS_ST_ST_Li2ELi8ELi8ELb0ELi1ELi1ELi1ENSH_IJLi1ELi32ELi1ELi8EEEELi4EEEDF16_DF16_S4_S4_S4_NS6_INS7_IJSD_SF_SF_NS_7UnMergeINS7_IJiNSA_IiLi8EEEEEELb0EEESF_EEENS7_IJSI_SJ_SK_SO_SN_EEENS7_IJSM_SN_SO_NSH_IJLi5ELi6EEEENSH_IJLi7EEEEEEENSH_IJLi5ELi7ELi6EEEElEES16_NS6_INS7_IJSD_SF_SF_NSW_INS7_IJiNSA_IiLi256EEEEEELb0EEENSW_INS7_IJiNSA_IiLi128EEEEEELb0EEEEEENS7_IJSI_SJ_SK_SN_SO_EEENS7_IJSM_SN_SO_S12_NSH_IJLi7ELi8EEEEEEENSH_IJLi5ELi6ELi7ELi8EEEElEENS_13TensorAdaptorINS7_IJNSW_ISC_Lb0EEES1K_NS_23Merge_v2_magic_divisionINS7_IJiiSB_SB_EEEEEEEENS7_IJSI_SJ_NSH_IJLi2ELi3ELi4ELi5EEEEEEENS7_IJNSH_IJLi2ELi4EEEENSH_IJLi3ELi5EEEENSH_IJLi6EEEEEEENSH_IJLi0ELi1EEEES1T_EELb0EEEvPKT0_S1Z_PT1_T2_T3_T4_T5_T6_T7_T8_.uses_flat_scratch, 0
	.set _ZN2ck37kernel_gemm_xdl_waveletmodel_cshuffleINS_53GridwiseGemm_k0mk1_k0nk1_mn_xdl_waveletmodel_cshuffleIDF16_fDF16_DF16_NS_16tensor_operation12element_wise11PassThroughES4_S4_LNS_25InMemoryDataOperationEnumE0ENS_16TensorDescriptorINS_5TupleIJNS_5EmbedINS7_IJiiEEENS7_IJiNS_17integral_constantIiLi1EEEEEELb0EEENS_11PassThroughIiEESF_EEENS7_IJNS_8SequenceIJLi0EEEENSH_IJLi1EEEENSH_IJLi2EEEEEEENS7_IJNSH_IJLi1ELi2EEEENSH_IJLi3EEEENSH_IJLi4EEEEEEENSH_IJLi3ELi4EEEElEESR_SR_Li1ELi256ELi256ELi256ELi128ELi32ELi8ELi8ELi16ELi16ELi8ELi2ENSH_IJLi4ELi64ELi1EEEENSH_IJLi1ELi0ELi2EEEEST_Li2ELi8ELi8ELb0ELi1ESS_ST_ST_Li2ELi8ELi8ELb0ELi1ELi1ELi1ENSH_IJLi1ELi32ELi1ELi8EEEELi4EEEDF16_DF16_S4_S4_S4_NS6_INS7_IJSD_SF_SF_NS_7UnMergeINS7_IJiNSA_IiLi8EEEEEELb0EEESF_EEENS7_IJSI_SJ_SK_SO_SN_EEENS7_IJSM_SN_SO_NSH_IJLi5ELi6EEEENSH_IJLi7EEEEEEENSH_IJLi5ELi7ELi6EEEElEES16_NS6_INS7_IJSD_SF_SF_NSW_INS7_IJiNSA_IiLi256EEEEEELb0EEENSW_INS7_IJiNSA_IiLi128EEEEEELb0EEEEEENS7_IJSI_SJ_SK_SN_SO_EEENS7_IJSM_SN_SO_S12_NSH_IJLi7ELi8EEEEEEENSH_IJLi5ELi6ELi7ELi8EEEElEENS_13TensorAdaptorINS7_IJNSW_ISC_Lb0EEES1K_NS_23Merge_v2_magic_divisionINS7_IJiiSB_SB_EEEEEEEENS7_IJSI_SJ_NSH_IJLi2ELi3ELi4ELi5EEEEEEENS7_IJNSH_IJLi2ELi4EEEENSH_IJLi3ELi5EEEENSH_IJLi6EEEEEEENSH_IJLi0ELi1EEEES1T_EELb0EEEvPKT0_S1Z_PT1_T2_T3_T4_T5_T6_T7_T8_.has_dyn_sized_stack, 0
	.set _ZN2ck37kernel_gemm_xdl_waveletmodel_cshuffleINS_53GridwiseGemm_k0mk1_k0nk1_mn_xdl_waveletmodel_cshuffleIDF16_fDF16_DF16_NS_16tensor_operation12element_wise11PassThroughES4_S4_LNS_25InMemoryDataOperationEnumE0ENS_16TensorDescriptorINS_5TupleIJNS_5EmbedINS7_IJiiEEENS7_IJiNS_17integral_constantIiLi1EEEEEELb0EEENS_11PassThroughIiEESF_EEENS7_IJNS_8SequenceIJLi0EEEENSH_IJLi1EEEENSH_IJLi2EEEEEEENS7_IJNSH_IJLi1ELi2EEEENSH_IJLi3EEEENSH_IJLi4EEEEEEENSH_IJLi3ELi4EEEElEESR_SR_Li1ELi256ELi256ELi256ELi128ELi32ELi8ELi8ELi16ELi16ELi8ELi2ENSH_IJLi4ELi64ELi1EEEENSH_IJLi1ELi0ELi2EEEEST_Li2ELi8ELi8ELb0ELi1ESS_ST_ST_Li2ELi8ELi8ELb0ELi1ELi1ELi1ENSH_IJLi1ELi32ELi1ELi8EEEELi4EEEDF16_DF16_S4_S4_S4_NS6_INS7_IJSD_SF_SF_NS_7UnMergeINS7_IJiNSA_IiLi8EEEEEELb0EEESF_EEENS7_IJSI_SJ_SK_SO_SN_EEENS7_IJSM_SN_SO_NSH_IJLi5ELi6EEEENSH_IJLi7EEEEEEENSH_IJLi5ELi7ELi6EEEElEES16_NS6_INS7_IJSD_SF_SF_NSW_INS7_IJiNSA_IiLi256EEEEEELb0EEENSW_INS7_IJiNSA_IiLi128EEEEEELb0EEEEEENS7_IJSI_SJ_SK_SN_SO_EEENS7_IJSM_SN_SO_S12_NSH_IJLi7ELi8EEEEEEENSH_IJLi5ELi6ELi7ELi8EEEElEENS_13TensorAdaptorINS7_IJNSW_ISC_Lb0EEES1K_NS_23Merge_v2_magic_divisionINS7_IJiiSB_SB_EEEEEEEENS7_IJSI_SJ_NSH_IJLi2ELi3ELi4ELi5EEEEEEENS7_IJNSH_IJLi2ELi4EEEENSH_IJLi3ELi5EEEENSH_IJLi6EEEEEEENSH_IJLi0ELi1EEEES1T_EELb0EEEvPKT0_S1Z_PT1_T2_T3_T4_T5_T6_T7_T8_.has_recursion, 0
	.set _ZN2ck37kernel_gemm_xdl_waveletmodel_cshuffleINS_53GridwiseGemm_k0mk1_k0nk1_mn_xdl_waveletmodel_cshuffleIDF16_fDF16_DF16_NS_16tensor_operation12element_wise11PassThroughES4_S4_LNS_25InMemoryDataOperationEnumE0ENS_16TensorDescriptorINS_5TupleIJNS_5EmbedINS7_IJiiEEENS7_IJiNS_17integral_constantIiLi1EEEEEELb0EEENS_11PassThroughIiEESF_EEENS7_IJNS_8SequenceIJLi0EEEENSH_IJLi1EEEENSH_IJLi2EEEEEEENS7_IJNSH_IJLi1ELi2EEEENSH_IJLi3EEEENSH_IJLi4EEEEEEENSH_IJLi3ELi4EEEElEESR_SR_Li1ELi256ELi256ELi256ELi128ELi32ELi8ELi8ELi16ELi16ELi8ELi2ENSH_IJLi4ELi64ELi1EEEENSH_IJLi1ELi0ELi2EEEEST_Li2ELi8ELi8ELb0ELi1ESS_ST_ST_Li2ELi8ELi8ELb0ELi1ELi1ELi1ENSH_IJLi1ELi32ELi1ELi8EEEELi4EEEDF16_DF16_S4_S4_S4_NS6_INS7_IJSD_SF_SF_NS_7UnMergeINS7_IJiNSA_IiLi8EEEEEELb0EEESF_EEENS7_IJSI_SJ_SK_SO_SN_EEENS7_IJSM_SN_SO_NSH_IJLi5ELi6EEEENSH_IJLi7EEEEEEENSH_IJLi5ELi7ELi6EEEElEES16_NS6_INS7_IJSD_SF_SF_NSW_INS7_IJiNSA_IiLi256EEEEEELb0EEENSW_INS7_IJiNSA_IiLi128EEEEEELb0EEEEEENS7_IJSI_SJ_SK_SN_SO_EEENS7_IJSM_SN_SO_S12_NSH_IJLi7ELi8EEEEEEENSH_IJLi5ELi6ELi7ELi8EEEElEENS_13TensorAdaptorINS7_IJNSW_ISC_Lb0EEES1K_NS_23Merge_v2_magic_divisionINS7_IJiiSB_SB_EEEEEEEENS7_IJSI_SJ_NSH_IJLi2ELi3ELi4ELi5EEEEEEENS7_IJNSH_IJLi2ELi4EEEENSH_IJLi3ELi5EEEENSH_IJLi6EEEEEEENSH_IJLi0ELi1EEEES1T_EELb0EEEvPKT0_S1Z_PT1_T2_T3_T4_T5_T6_T7_T8_.has_indirect_call, 0
	.section	.AMDGPU.csdata,"",@progbits
; Kernel info:
; codeLenInByte = 4
; TotalNumSgprs: 6
; NumVgprs: 0
; NumAgprs: 0
; TotalNumVgprs: 0
; ScratchSize: 0
; MemoryBound: 0
; FloatMode: 240
; IeeeMode: 1
; LDSByteSize: 0 bytes/workgroup (compile time only)
; SGPRBlocks: 0
; VGPRBlocks: 0
; NumSGPRsForWavesPerEU: 6
; NumVGPRsForWavesPerEU: 1
; AccumOffset: 4
; Occupancy: 8
; WaveLimiterHint : 0
; COMPUTE_PGM_RSRC2:SCRATCH_EN: 0
; COMPUTE_PGM_RSRC2:USER_SGPR: 2
; COMPUTE_PGM_RSRC2:TRAP_HANDLER: 0
; COMPUTE_PGM_RSRC2:TGID_X_EN: 1
; COMPUTE_PGM_RSRC2:TGID_Y_EN: 0
; COMPUTE_PGM_RSRC2:TGID_Z_EN: 0
; COMPUTE_PGM_RSRC2:TIDIG_COMP_CNT: 0
; COMPUTE_PGM_RSRC3_GFX90A:ACCUM_OFFSET: 0
; COMPUTE_PGM_RSRC3_GFX90A:TG_SPLIT: 0
	.section	.text._ZN2ck17naive_gemm_kernelINS_13tensor_layout4gemm8RowMajorENS2_11ColumnMajorES3_DF16_DF16_DF16_fNS_16tensor_operation12element_wise11PassThroughES7_S7_DF16_DF16_EEvPKT2_PKT3_PT4_iiiT6_T7_T8_,"axG",@progbits,_ZN2ck17naive_gemm_kernelINS_13tensor_layout4gemm8RowMajorENS2_11ColumnMajorES3_DF16_DF16_DF16_fNS_16tensor_operation12element_wise11PassThroughES7_S7_DF16_DF16_EEvPKT2_PKT3_PT4_iiiT6_T7_T8_,comdat
	.protected	_ZN2ck17naive_gemm_kernelINS_13tensor_layout4gemm8RowMajorENS2_11ColumnMajorES3_DF16_DF16_DF16_fNS_16tensor_operation12element_wise11PassThroughES7_S7_DF16_DF16_EEvPKT2_PKT3_PT4_iiiT6_T7_T8_ ; -- Begin function _ZN2ck17naive_gemm_kernelINS_13tensor_layout4gemm8RowMajorENS2_11ColumnMajorES3_DF16_DF16_DF16_fNS_16tensor_operation12element_wise11PassThroughES7_S7_DF16_DF16_EEvPKT2_PKT3_PT4_iiiT6_T7_T8_
	.globl	_ZN2ck17naive_gemm_kernelINS_13tensor_layout4gemm8RowMajorENS2_11ColumnMajorES3_DF16_DF16_DF16_fNS_16tensor_operation12element_wise11PassThroughES7_S7_DF16_DF16_EEvPKT2_PKT3_PT4_iiiT6_T7_T8_
	.p2align	8
	.type	_ZN2ck17naive_gemm_kernelINS_13tensor_layout4gemm8RowMajorENS2_11ColumnMajorES3_DF16_DF16_DF16_fNS_16tensor_operation12element_wise11PassThroughES7_S7_DF16_DF16_EEvPKT2_PKT3_PT4_iiiT6_T7_T8_,@function
_ZN2ck17naive_gemm_kernelINS_13tensor_layout4gemm8RowMajorENS2_11ColumnMajorES3_DF16_DF16_DF16_fNS_16tensor_operation12element_wise11PassThroughES7_S7_DF16_DF16_EEvPKT2_PKT3_PT4_iiiT6_T7_T8_: ; @_ZN2ck17naive_gemm_kernelINS_13tensor_layout4gemm8RowMajorENS2_11ColumnMajorES3_DF16_DF16_DF16_fNS_16tensor_operation12element_wise11PassThroughES7_S7_DF16_DF16_EEvPKT2_PKT3_PT4_iiiT6_T7_T8_
; %bb.0:
	s_load_dword s8, s[0:1], 0x34
	s_load_dwordx4 s[4:7], s[0:1], 0x18
	v_and_b32_e32 v1, 0x3ff, v0
	v_bfe_u32 v0, v0, 10, 10
	s_waitcnt lgkmcnt(0)
	s_lshr_b32 s7, s8, 16
	s_and_b32 s8, s8, 0xffff
	s_mul_i32 s2, s2, s8
	s_mul_i32 s3, s3, s7
	v_add_u32_e32 v1, s2, v1
	v_add_u32_e32 v0, s3, v0
	v_cmp_gt_i32_e32 vcc, s4, v1
	v_cmp_gt_i32_e64 s[2:3], s5, v0
	s_and_b64 s[2:3], vcc, s[2:3]
	s_and_saveexec_b64 s[8:9], s[2:3]
	s_cbranch_execz .LBB5_7
; %bb.1:
	s_load_dwordx2 s[2:3], s[0:1], 0x10
	s_cmp_lt_i32 s6, 1
	s_cbranch_scc1 .LBB5_5
; %bb.2:
	s_load_dwordx4 s[8:11], s[0:1], 0x0
	v_mul_lo_u32 v4, v1, s6
	v_mul_lo_u32 v2, v0, s6
	v_ashrrev_i32_e32 v3, 31, v2
	v_ashrrev_i32_e32 v5, 31, v4
	s_waitcnt lgkmcnt(0)
	v_lshl_add_u64 v[2:3], v[2:3], 1, s[10:11]
	v_lshl_add_u64 v[4:5], v[4:5], 1, s[8:9]
	v_mov_b32_e32 v6, 0
.LBB5_3:                                ; =>This Inner Loop Header: Depth=1
	global_load_ushort v7, v[4:5], off
	global_load_ushort v8, v[2:3], off
	s_add_i32 s6, s6, -1
	v_lshl_add_u64 v[2:3], v[2:3], 0, 2
	v_lshl_add_u64 v[4:5], v[4:5], 0, 2
	s_cmp_eq_u32 s6, 0
	s_waitcnt vmcnt(0)
	v_fma_mix_f32 v6, v7, v8, v6 op_sel_hi:[1,1,0]
	s_cbranch_scc0 .LBB5_3
; %bb.4:
	v_cvt_f16_f32_e32 v2, v6
	s_branch .LBB5_6
.LBB5_5:
	v_mov_b32_e32 v2, 0
.LBB5_6:
	v_mad_u64_u32 v[0:1], s[0:1], v1, s5, v[0:1]
	v_ashrrev_i32_e32 v1, 31, v0
	s_waitcnt lgkmcnt(0)
	v_lshl_add_u64 v[0:1], v[0:1], 1, s[2:3]
	global_store_short v[0:1], v2, off
.LBB5_7:
	s_endpgm
	.section	.rodata,"a",@progbits
	.p2align	6, 0x0
	.amdhsa_kernel _ZN2ck17naive_gemm_kernelINS_13tensor_layout4gemm8RowMajorENS2_11ColumnMajorES3_DF16_DF16_DF16_fNS_16tensor_operation12element_wise11PassThroughES7_S7_DF16_DF16_EEvPKT2_PKT3_PT4_iiiT6_T7_T8_
		.amdhsa_group_segment_fixed_size 0
		.amdhsa_private_segment_fixed_size 0
		.amdhsa_kernarg_size 296
		.amdhsa_user_sgpr_count 2
		.amdhsa_user_sgpr_dispatch_ptr 0
		.amdhsa_user_sgpr_queue_ptr 0
		.amdhsa_user_sgpr_kernarg_segment_ptr 1
		.amdhsa_user_sgpr_dispatch_id 0
		.amdhsa_user_sgpr_kernarg_preload_length 0
		.amdhsa_user_sgpr_kernarg_preload_offset 0
		.amdhsa_user_sgpr_private_segment_size 0
		.amdhsa_uses_dynamic_stack 0
		.amdhsa_enable_private_segment 0
		.amdhsa_system_sgpr_workgroup_id_x 1
		.amdhsa_system_sgpr_workgroup_id_y 1
		.amdhsa_system_sgpr_workgroup_id_z 0
		.amdhsa_system_sgpr_workgroup_info 0
		.amdhsa_system_vgpr_workitem_id 1
		.amdhsa_next_free_vgpr 9
		.amdhsa_next_free_sgpr 12
		.amdhsa_accum_offset 12
		.amdhsa_reserve_vcc 1
		.amdhsa_float_round_mode_32 0
		.amdhsa_float_round_mode_16_64 0
		.amdhsa_float_denorm_mode_32 3
		.amdhsa_float_denorm_mode_16_64 3
		.amdhsa_dx10_clamp 1
		.amdhsa_ieee_mode 1
		.amdhsa_fp16_overflow 0
		.amdhsa_tg_split 0
		.amdhsa_exception_fp_ieee_invalid_op 0
		.amdhsa_exception_fp_denorm_src 0
		.amdhsa_exception_fp_ieee_div_zero 0
		.amdhsa_exception_fp_ieee_overflow 0
		.amdhsa_exception_fp_ieee_underflow 0
		.amdhsa_exception_fp_ieee_inexact 0
		.amdhsa_exception_int_div_zero 0
	.end_amdhsa_kernel
	.section	.text._ZN2ck17naive_gemm_kernelINS_13tensor_layout4gemm8RowMajorENS2_11ColumnMajorES3_DF16_DF16_DF16_fNS_16tensor_operation12element_wise11PassThroughES7_S7_DF16_DF16_EEvPKT2_PKT3_PT4_iiiT6_T7_T8_,"axG",@progbits,_ZN2ck17naive_gemm_kernelINS_13tensor_layout4gemm8RowMajorENS2_11ColumnMajorES3_DF16_DF16_DF16_fNS_16tensor_operation12element_wise11PassThroughES7_S7_DF16_DF16_EEvPKT2_PKT3_PT4_iiiT6_T7_T8_,comdat
.Lfunc_end5:
	.size	_ZN2ck17naive_gemm_kernelINS_13tensor_layout4gemm8RowMajorENS2_11ColumnMajorES3_DF16_DF16_DF16_fNS_16tensor_operation12element_wise11PassThroughES7_S7_DF16_DF16_EEvPKT2_PKT3_PT4_iiiT6_T7_T8_, .Lfunc_end5-_ZN2ck17naive_gemm_kernelINS_13tensor_layout4gemm8RowMajorENS2_11ColumnMajorES3_DF16_DF16_DF16_fNS_16tensor_operation12element_wise11PassThroughES7_S7_DF16_DF16_EEvPKT2_PKT3_PT4_iiiT6_T7_T8_
                                        ; -- End function
	.set _ZN2ck17naive_gemm_kernelINS_13tensor_layout4gemm8RowMajorENS2_11ColumnMajorES3_DF16_DF16_DF16_fNS_16tensor_operation12element_wise11PassThroughES7_S7_DF16_DF16_EEvPKT2_PKT3_PT4_iiiT6_T7_T8_.num_vgpr, 9
	.set _ZN2ck17naive_gemm_kernelINS_13tensor_layout4gemm8RowMajorENS2_11ColumnMajorES3_DF16_DF16_DF16_fNS_16tensor_operation12element_wise11PassThroughES7_S7_DF16_DF16_EEvPKT2_PKT3_PT4_iiiT6_T7_T8_.num_agpr, 0
	.set _ZN2ck17naive_gemm_kernelINS_13tensor_layout4gemm8RowMajorENS2_11ColumnMajorES3_DF16_DF16_DF16_fNS_16tensor_operation12element_wise11PassThroughES7_S7_DF16_DF16_EEvPKT2_PKT3_PT4_iiiT6_T7_T8_.numbered_sgpr, 12
	.set _ZN2ck17naive_gemm_kernelINS_13tensor_layout4gemm8RowMajorENS2_11ColumnMajorES3_DF16_DF16_DF16_fNS_16tensor_operation12element_wise11PassThroughES7_S7_DF16_DF16_EEvPKT2_PKT3_PT4_iiiT6_T7_T8_.num_named_barrier, 0
	.set _ZN2ck17naive_gemm_kernelINS_13tensor_layout4gemm8RowMajorENS2_11ColumnMajorES3_DF16_DF16_DF16_fNS_16tensor_operation12element_wise11PassThroughES7_S7_DF16_DF16_EEvPKT2_PKT3_PT4_iiiT6_T7_T8_.private_seg_size, 0
	.set _ZN2ck17naive_gemm_kernelINS_13tensor_layout4gemm8RowMajorENS2_11ColumnMajorES3_DF16_DF16_DF16_fNS_16tensor_operation12element_wise11PassThroughES7_S7_DF16_DF16_EEvPKT2_PKT3_PT4_iiiT6_T7_T8_.uses_vcc, 1
	.set _ZN2ck17naive_gemm_kernelINS_13tensor_layout4gemm8RowMajorENS2_11ColumnMajorES3_DF16_DF16_DF16_fNS_16tensor_operation12element_wise11PassThroughES7_S7_DF16_DF16_EEvPKT2_PKT3_PT4_iiiT6_T7_T8_.uses_flat_scratch, 0
	.set _ZN2ck17naive_gemm_kernelINS_13tensor_layout4gemm8RowMajorENS2_11ColumnMajorES3_DF16_DF16_DF16_fNS_16tensor_operation12element_wise11PassThroughES7_S7_DF16_DF16_EEvPKT2_PKT3_PT4_iiiT6_T7_T8_.has_dyn_sized_stack, 0
	.set _ZN2ck17naive_gemm_kernelINS_13tensor_layout4gemm8RowMajorENS2_11ColumnMajorES3_DF16_DF16_DF16_fNS_16tensor_operation12element_wise11PassThroughES7_S7_DF16_DF16_EEvPKT2_PKT3_PT4_iiiT6_T7_T8_.has_recursion, 0
	.set _ZN2ck17naive_gemm_kernelINS_13tensor_layout4gemm8RowMajorENS2_11ColumnMajorES3_DF16_DF16_DF16_fNS_16tensor_operation12element_wise11PassThroughES7_S7_DF16_DF16_EEvPKT2_PKT3_PT4_iiiT6_T7_T8_.has_indirect_call, 0
	.section	.AMDGPU.csdata,"",@progbits
; Kernel info:
; codeLenInByte = 264
; TotalNumSgprs: 18
; NumVgprs: 9
; NumAgprs: 0
; TotalNumVgprs: 9
; ScratchSize: 0
; MemoryBound: 0
; FloatMode: 240
; IeeeMode: 1
; LDSByteSize: 0 bytes/workgroup (compile time only)
; SGPRBlocks: 2
; VGPRBlocks: 1
; NumSGPRsForWavesPerEU: 18
; NumVGPRsForWavesPerEU: 9
; AccumOffset: 12
; Occupancy: 8
; WaveLimiterHint : 0
; COMPUTE_PGM_RSRC2:SCRATCH_EN: 0
; COMPUTE_PGM_RSRC2:USER_SGPR: 2
; COMPUTE_PGM_RSRC2:TRAP_HANDLER: 0
; COMPUTE_PGM_RSRC2:TGID_X_EN: 1
; COMPUTE_PGM_RSRC2:TGID_Y_EN: 1
; COMPUTE_PGM_RSRC2:TGID_Z_EN: 0
; COMPUTE_PGM_RSRC2:TIDIG_COMP_CNT: 1
; COMPUTE_PGM_RSRC3_GFX90A:ACCUM_OFFSET: 2
; COMPUTE_PGM_RSRC3_GFX90A:TG_SPLIT: 0
	.section	.AMDGPU.gpr_maximums,"",@progbits
	.set amdgpu.max_num_vgpr, 0
	.set amdgpu.max_num_agpr, 0
	.set amdgpu.max_num_sgpr, 0
	.section	.AMDGPU.csdata,"",@progbits
	.type	__hip_cuid_765bec75a53bd4e7,@object ; @__hip_cuid_765bec75a53bd4e7
	.section	.bss,"aw",@nobits
	.globl	__hip_cuid_765bec75a53bd4e7
__hip_cuid_765bec75a53bd4e7:
	.byte	0                               ; 0x0
	.size	__hip_cuid_765bec75a53bd4e7, 1

	.ident	"AMD clang version 22.0.0git (https://github.com/RadeonOpenCompute/llvm-project roc-7.2.4 26084 f58b06dce1f9c15707c5f808fd002e18c2accf7e)"
	.section	".note.GNU-stack","",@progbits
	.addrsig
	.addrsig_sym __hip_cuid_765bec75a53bd4e7
	.amdgpu_metadata
---
amdhsa.kernels:
  - .agpr_count:     0
    .args:           []
    .group_segment_fixed_size: 0
    .kernarg_segment_align: 4
    .kernarg_segment_size: 0
    .language:       OpenCL C
    .language_version:
      - 2
      - 0
    .max_flat_workgroup_size: 1024
    .name:           _ZN2ckL12flush_icacheEv
    .private_segment_fixed_size: 0
    .sgpr_count:     6
    .sgpr_spill_count: 0
    .symbol:         _ZN2ckL12flush_icacheEv.kd
    .uniform_work_group_size: 1
    .uses_dynamic_stack: false
    .vgpr_count:     0
    .vgpr_spill_count: 0
    .wavefront_size: 64
  - .agpr_count:     0
    .args:
      - .actual_access:  read_only
        .address_space:  global
        .offset:         0
        .size:           8
        .value_kind:     global_buffer
      - .actual_access:  read_only
        .address_space:  global
        .offset:         8
        .size:           8
        .value_kind:     global_buffer
      - .actual_access:  write_only
        .address_space:  global
        .offset:         16
        .size:           8
        .value_kind:     global_buffer
      - .offset:         24
        .size:           1
        .value_kind:     by_value
      - .offset:         25
        .size:           1
        .value_kind:     by_value
      - .offset:         26
        .size:           1
        .value_kind:     by_value
      - .offset:         32
        .size:           56
        .value_kind:     by_value
      - .offset:         88
        .size:           56
        .value_kind:     by_value
      - .offset:         144
        .size:           64
        .value_kind:     by_value
      - .offset:         208
        .size:           68
        .value_kind:     by_value
    .group_segment_fixed_size: 24672
    .kernarg_segment_align: 8
    .kernarg_segment_size: 276
    .language:       OpenCL C
    .language_version:
      - 2
      - 0
    .max_flat_workgroup_size: 512
    .name:           _ZN2ck37kernel_gemm_xdl_waveletmodel_cshuffleINS_53GridwiseGemm_k0mk1_k0nk1_mn_xdl_waveletmodel_cshuffleIDF16_fDF16_DF16_NS_16tensor_operation12element_wise11PassThroughES4_S4_LNS_25InMemoryDataOperationEnumE0ENS_16TensorDescriptorINS_5TupleIJNS_5EmbedINS7_IJiiEEENS7_IJiNS_17integral_constantIiLi1EEEEEELb0EEENS_11PassThroughIiEESF_EEENS7_IJNS_8SequenceIJLi0EEEENSH_IJLi1EEEENSH_IJLi2EEEEEEENS7_IJNSH_IJLi1ELi2EEEENSH_IJLi3EEEENSH_IJLi4EEEEEEENSH_IJLi3ELi4EEEElEESR_SR_Li1ELi256ELi256ELi256ELi128ELi32ELi8ELi8ELi16ELi16ELi8ELi4ENSH_IJLi4ELi64ELi1EEEENSH_IJLi1ELi0ELi2EEEEST_Li2ELi8ELi8ELb0ELi1ESS_ST_ST_Li2ELi8ELi8ELb0ELi1ELi1ELi1ENSH_IJLi1ELi32ELi1ELi8EEEELi4EEEDF16_DF16_S4_S4_S4_NS6_INS7_IJSD_SF_SF_NS_7UnMergeINS7_IJiNSA_IiLi8EEEEEELb0EEESF_EEENS7_IJSI_SJ_SK_SO_SN_EEENS7_IJSM_SN_SO_NSH_IJLi5ELi6EEEENSH_IJLi7EEEEEEENSH_IJLi5ELi7ELi6EEEElEES16_NS6_INS7_IJSD_SF_SF_NSW_INS7_IJiNSA_IiLi256EEEEEELb0EEENSW_INS7_IJiNSA_IiLi128EEEEEELb0EEEEEENS7_IJSI_SJ_SK_SN_SO_EEENS7_IJSM_SN_SO_S12_NSH_IJLi7ELi8EEEEEEENSH_IJLi5ELi6ELi7ELi8EEEElEENS_13TensorAdaptorINS7_IJNSW_ISC_Lb0EEES1K_NS_23Merge_v2_magic_divisionINS7_IJiiSB_SB_EEEEEEEENS7_IJSI_SJ_NSH_IJLi2ELi3ELi4ELi5EEEEEEENS7_IJNSH_IJLi2ELi4EEEENSH_IJLi3ELi5EEEENSH_IJLi6EEEEEEENSH_IJLi0ELi1EEEES1T_EELb1EEEvPKT0_S1Z_PT1_T2_T3_T4_T5_T6_T7_T8_
    .private_segment_fixed_size: 0
    .sgpr_count:     25
    .sgpr_spill_count: 0
    .symbol:         _ZN2ck37kernel_gemm_xdl_waveletmodel_cshuffleINS_53GridwiseGemm_k0mk1_k0nk1_mn_xdl_waveletmodel_cshuffleIDF16_fDF16_DF16_NS_16tensor_operation12element_wise11PassThroughES4_S4_LNS_25InMemoryDataOperationEnumE0ENS_16TensorDescriptorINS_5TupleIJNS_5EmbedINS7_IJiiEEENS7_IJiNS_17integral_constantIiLi1EEEEEELb0EEENS_11PassThroughIiEESF_EEENS7_IJNS_8SequenceIJLi0EEEENSH_IJLi1EEEENSH_IJLi2EEEEEEENS7_IJNSH_IJLi1ELi2EEEENSH_IJLi3EEEENSH_IJLi4EEEEEEENSH_IJLi3ELi4EEEElEESR_SR_Li1ELi256ELi256ELi256ELi128ELi32ELi8ELi8ELi16ELi16ELi8ELi4ENSH_IJLi4ELi64ELi1EEEENSH_IJLi1ELi0ELi2EEEEST_Li2ELi8ELi8ELb0ELi1ESS_ST_ST_Li2ELi8ELi8ELb0ELi1ELi1ELi1ENSH_IJLi1ELi32ELi1ELi8EEEELi4EEEDF16_DF16_S4_S4_S4_NS6_INS7_IJSD_SF_SF_NS_7UnMergeINS7_IJiNSA_IiLi8EEEEEELb0EEESF_EEENS7_IJSI_SJ_SK_SO_SN_EEENS7_IJSM_SN_SO_NSH_IJLi5ELi6EEEENSH_IJLi7EEEEEEENSH_IJLi5ELi7ELi6EEEElEES16_NS6_INS7_IJSD_SF_SF_NSW_INS7_IJiNSA_IiLi256EEEEEELb0EEENSW_INS7_IJiNSA_IiLi128EEEEEELb0EEEEEENS7_IJSI_SJ_SK_SN_SO_EEENS7_IJSM_SN_SO_S12_NSH_IJLi7ELi8EEEEEEENSH_IJLi5ELi6ELi7ELi8EEEElEENS_13TensorAdaptorINS7_IJNSW_ISC_Lb0EEES1K_NS_23Merge_v2_magic_divisionINS7_IJiiSB_SB_EEEEEEEENS7_IJSI_SJ_NSH_IJLi2ELi3ELi4ELi5EEEEEEENS7_IJNSH_IJLi2ELi4EEEENSH_IJLi3ELi5EEEENSH_IJLi6EEEEEEENSH_IJLi0ELi1EEEES1T_EELb1EEEvPKT0_S1Z_PT1_T2_T3_T4_T5_T6_T7_T8_.kd
    .uniform_work_group_size: 1
    .uses_dynamic_stack: false
    .vgpr_count:     158
    .vgpr_spill_count: 0
    .wavefront_size: 64
  - .agpr_count:     0
    .args:
      - .actual_access:  read_only
        .address_space:  global
        .offset:         0
        .size:           8
        .value_kind:     global_buffer
      - .actual_access:  read_only
        .address_space:  global
        .offset:         8
        .size:           8
        .value_kind:     global_buffer
      - .actual_access:  write_only
        .address_space:  global
        .offset:         16
        .size:           8
        .value_kind:     global_buffer
      - .offset:         24
        .size:           1
        .value_kind:     by_value
      - .offset:         25
        .size:           1
        .value_kind:     by_value
      - .offset:         26
        .size:           1
        .value_kind:     by_value
      - .offset:         32
        .size:           56
        .value_kind:     by_value
      - .offset:         88
        .size:           56
        .value_kind:     by_value
      - .offset:         144
        .size:           64
        .value_kind:     by_value
      - .offset:         208
        .size:           68
        .value_kind:     by_value
    .group_segment_fixed_size: 24672
    .kernarg_segment_align: 8
    .kernarg_segment_size: 276
    .language:       OpenCL C
    .language_version:
      - 2
      - 0
    .max_flat_workgroup_size: 512
    .name:           _ZN2ck37kernel_gemm_xdl_waveletmodel_cshuffleINS_53GridwiseGemm_k0mk1_k0nk1_mn_xdl_waveletmodel_cshuffleIDF16_fDF16_DF16_NS_16tensor_operation12element_wise11PassThroughES4_S4_LNS_25InMemoryDataOperationEnumE0ENS_16TensorDescriptorINS_5TupleIJNS_5EmbedINS7_IJiiEEENS7_IJiNS_17integral_constantIiLi1EEEEEELb0EEENS_11PassThroughIiEESF_EEENS7_IJNS_8SequenceIJLi0EEEENSH_IJLi1EEEENSH_IJLi2EEEEEEENS7_IJNSH_IJLi1ELi2EEEENSH_IJLi3EEEENSH_IJLi4EEEEEEENSH_IJLi3ELi4EEEElEESR_SR_Li1ELi256ELi256ELi256ELi128ELi32ELi8ELi8ELi16ELi16ELi8ELi4ENSH_IJLi4ELi64ELi1EEEENSH_IJLi1ELi0ELi2EEEEST_Li2ELi8ELi8ELb0ELi1ESS_ST_ST_Li2ELi8ELi8ELb0ELi1ELi1ELi1ENSH_IJLi1ELi32ELi1ELi8EEEELi4EEEDF16_DF16_S4_S4_S4_NS6_INS7_IJSD_SF_SF_NS_7UnMergeINS7_IJiNSA_IiLi8EEEEEELb0EEESF_EEENS7_IJSI_SJ_SK_SO_SN_EEENS7_IJSM_SN_SO_NSH_IJLi5ELi6EEEENSH_IJLi7EEEEEEENSH_IJLi5ELi7ELi6EEEElEES16_NS6_INS7_IJSD_SF_SF_NSW_INS7_IJiNSA_IiLi256EEEEEELb0EEENSW_INS7_IJiNSA_IiLi128EEEEEELb0EEEEEENS7_IJSI_SJ_SK_SN_SO_EEENS7_IJSM_SN_SO_S12_NSH_IJLi7ELi8EEEEEEENSH_IJLi5ELi6ELi7ELi8EEEElEENS_13TensorAdaptorINS7_IJNSW_ISC_Lb0EEES1K_NS_23Merge_v2_magic_divisionINS7_IJiiSB_SB_EEEEEEEENS7_IJSI_SJ_NSH_IJLi2ELi3ELi4ELi5EEEEEEENS7_IJNSH_IJLi2ELi4EEEENSH_IJLi3ELi5EEEENSH_IJLi6EEEEEEENSH_IJLi0ELi1EEEES1T_EELb0EEEvPKT0_S1Z_PT1_T2_T3_T4_T5_T6_T7_T8_
    .private_segment_fixed_size: 0
    .sgpr_count:     19
    .sgpr_spill_count: 0
    .symbol:         _ZN2ck37kernel_gemm_xdl_waveletmodel_cshuffleINS_53GridwiseGemm_k0mk1_k0nk1_mn_xdl_waveletmodel_cshuffleIDF16_fDF16_DF16_NS_16tensor_operation12element_wise11PassThroughES4_S4_LNS_25InMemoryDataOperationEnumE0ENS_16TensorDescriptorINS_5TupleIJNS_5EmbedINS7_IJiiEEENS7_IJiNS_17integral_constantIiLi1EEEEEELb0EEENS_11PassThroughIiEESF_EEENS7_IJNS_8SequenceIJLi0EEEENSH_IJLi1EEEENSH_IJLi2EEEEEEENS7_IJNSH_IJLi1ELi2EEEENSH_IJLi3EEEENSH_IJLi4EEEEEEENSH_IJLi3ELi4EEEElEESR_SR_Li1ELi256ELi256ELi256ELi128ELi32ELi8ELi8ELi16ELi16ELi8ELi4ENSH_IJLi4ELi64ELi1EEEENSH_IJLi1ELi0ELi2EEEEST_Li2ELi8ELi8ELb0ELi1ESS_ST_ST_Li2ELi8ELi8ELb0ELi1ELi1ELi1ENSH_IJLi1ELi32ELi1ELi8EEEELi4EEEDF16_DF16_S4_S4_S4_NS6_INS7_IJSD_SF_SF_NS_7UnMergeINS7_IJiNSA_IiLi8EEEEEELb0EEESF_EEENS7_IJSI_SJ_SK_SO_SN_EEENS7_IJSM_SN_SO_NSH_IJLi5ELi6EEEENSH_IJLi7EEEEEEENSH_IJLi5ELi7ELi6EEEElEES16_NS6_INS7_IJSD_SF_SF_NSW_INS7_IJiNSA_IiLi256EEEEEELb0EEENSW_INS7_IJiNSA_IiLi128EEEEEELb0EEEEEENS7_IJSI_SJ_SK_SN_SO_EEENS7_IJSM_SN_SO_S12_NSH_IJLi7ELi8EEEEEEENSH_IJLi5ELi6ELi7ELi8EEEElEENS_13TensorAdaptorINS7_IJNSW_ISC_Lb0EEES1K_NS_23Merge_v2_magic_divisionINS7_IJiiSB_SB_EEEEEEEENS7_IJSI_SJ_NSH_IJLi2ELi3ELi4ELi5EEEEEEENS7_IJNSH_IJLi2ELi4EEEENSH_IJLi3ELi5EEEENSH_IJLi6EEEEEEENSH_IJLi0ELi1EEEES1T_EELb0EEEvPKT0_S1Z_PT1_T2_T3_T4_T5_T6_T7_T8_.kd
    .uniform_work_group_size: 1
    .uses_dynamic_stack: false
    .vgpr_count:     60
    .vgpr_spill_count: 0
    .wavefront_size: 64
  - .agpr_count:     0
    .args:
      - .actual_access:  read_only
        .address_space:  global
        .offset:         0
        .size:           8
        .value_kind:     global_buffer
      - .actual_access:  read_only
        .address_space:  global
        .offset:         8
        .size:           8
        .value_kind:     global_buffer
      - .actual_access:  read_only
        .address_space:  global
        .offset:         16
        .size:           8
        .value_kind:     global_buffer
      - .offset:         24
        .size:           1
        .value_kind:     by_value
      - .offset:         25
        .size:           1
        .value_kind:     by_value
      - .offset:         26
        .size:           1
        .value_kind:     by_value
      - .offset:         32
        .size:           56
        .value_kind:     by_value
      - .offset:         88
        .size:           56
        .value_kind:     by_value
      - .offset:         144
        .size:           64
        .value_kind:     by_value
      - .offset:         208
        .size:           68
        .value_kind:     by_value
    .group_segment_fixed_size: 0
    .kernarg_segment_align: 8
    .kernarg_segment_size: 276
    .language:       OpenCL C
    .language_version:
      - 2
      - 0
    .max_flat_workgroup_size: 512
    .name:           _ZN2ck37kernel_gemm_xdl_waveletmodel_cshuffleINS_53GridwiseGemm_k0mk1_k0nk1_mn_xdl_waveletmodel_cshuffleIDF16_fDF16_DF16_NS_16tensor_operation12element_wise11PassThroughES4_S4_LNS_25InMemoryDataOperationEnumE0ENS_16TensorDescriptorINS_5TupleIJNS_5EmbedINS7_IJiiEEENS7_IJiNS_17integral_constantIiLi1EEEEEELb0EEENS_11PassThroughIiEESF_EEENS7_IJNS_8SequenceIJLi0EEEENSH_IJLi1EEEENSH_IJLi2EEEEEEENS7_IJNSH_IJLi1ELi2EEEENSH_IJLi3EEEENSH_IJLi4EEEEEEENSH_IJLi3ELi4EEEElEESR_SR_Li1ELi256ELi256ELi256ELi128ELi32ELi8ELi8ELi16ELi16ELi8ELi2ENSH_IJLi4ELi64ELi1EEEENSH_IJLi1ELi0ELi2EEEEST_Li2ELi8ELi8ELb0ELi1ESS_ST_ST_Li2ELi8ELi8ELb0ELi1ELi1ELi1ENSH_IJLi1ELi32ELi1ELi8EEEELi4EEEDF16_DF16_S4_S4_S4_NS6_INS7_IJSD_SF_SF_NS_7UnMergeINS7_IJiNSA_IiLi8EEEEEELb0EEESF_EEENS7_IJSI_SJ_SK_SO_SN_EEENS7_IJSM_SN_SO_NSH_IJLi5ELi6EEEENSH_IJLi7EEEEEEENSH_IJLi5ELi7ELi6EEEElEES16_NS6_INS7_IJSD_SF_SF_NSW_INS7_IJiNSA_IiLi256EEEEEELb0EEENSW_INS7_IJiNSA_IiLi128EEEEEELb0EEEEEENS7_IJSI_SJ_SK_SN_SO_EEENS7_IJSM_SN_SO_S12_NSH_IJLi7ELi8EEEEEEENSH_IJLi5ELi6ELi7ELi8EEEElEENS_13TensorAdaptorINS7_IJNSW_ISC_Lb0EEES1K_NS_23Merge_v2_magic_divisionINS7_IJiiSB_SB_EEEEEEEENS7_IJSI_SJ_NSH_IJLi2ELi3ELi4ELi5EEEEEEENS7_IJNSH_IJLi2ELi4EEEENSH_IJLi3ELi5EEEENSH_IJLi6EEEEEEENSH_IJLi0ELi1EEEES1T_EELb1EEEvPKT0_S1Z_PT1_T2_T3_T4_T5_T6_T7_T8_
    .private_segment_fixed_size: 0
    .sgpr_count:     6
    .sgpr_spill_count: 0
    .symbol:         _ZN2ck37kernel_gemm_xdl_waveletmodel_cshuffleINS_53GridwiseGemm_k0mk1_k0nk1_mn_xdl_waveletmodel_cshuffleIDF16_fDF16_DF16_NS_16tensor_operation12element_wise11PassThroughES4_S4_LNS_25InMemoryDataOperationEnumE0ENS_16TensorDescriptorINS_5TupleIJNS_5EmbedINS7_IJiiEEENS7_IJiNS_17integral_constantIiLi1EEEEEELb0EEENS_11PassThroughIiEESF_EEENS7_IJNS_8SequenceIJLi0EEEENSH_IJLi1EEEENSH_IJLi2EEEEEEENS7_IJNSH_IJLi1ELi2EEEENSH_IJLi3EEEENSH_IJLi4EEEEEEENSH_IJLi3ELi4EEEElEESR_SR_Li1ELi256ELi256ELi256ELi128ELi32ELi8ELi8ELi16ELi16ELi8ELi2ENSH_IJLi4ELi64ELi1EEEENSH_IJLi1ELi0ELi2EEEEST_Li2ELi8ELi8ELb0ELi1ESS_ST_ST_Li2ELi8ELi8ELb0ELi1ELi1ELi1ENSH_IJLi1ELi32ELi1ELi8EEEELi4EEEDF16_DF16_S4_S4_S4_NS6_INS7_IJSD_SF_SF_NS_7UnMergeINS7_IJiNSA_IiLi8EEEEEELb0EEESF_EEENS7_IJSI_SJ_SK_SO_SN_EEENS7_IJSM_SN_SO_NSH_IJLi5ELi6EEEENSH_IJLi7EEEEEEENSH_IJLi5ELi7ELi6EEEElEES16_NS6_INS7_IJSD_SF_SF_NSW_INS7_IJiNSA_IiLi256EEEEEELb0EEENSW_INS7_IJiNSA_IiLi128EEEEEELb0EEEEEENS7_IJSI_SJ_SK_SN_SO_EEENS7_IJSM_SN_SO_S12_NSH_IJLi7ELi8EEEEEEENSH_IJLi5ELi6ELi7ELi8EEEElEENS_13TensorAdaptorINS7_IJNSW_ISC_Lb0EEES1K_NS_23Merge_v2_magic_divisionINS7_IJiiSB_SB_EEEEEEEENS7_IJSI_SJ_NSH_IJLi2ELi3ELi4ELi5EEEEEEENS7_IJNSH_IJLi2ELi4EEEENSH_IJLi3ELi5EEEENSH_IJLi6EEEEEEENSH_IJLi0ELi1EEEES1T_EELb1EEEvPKT0_S1Z_PT1_T2_T3_T4_T5_T6_T7_T8_.kd
    .uniform_work_group_size: 1
    .uses_dynamic_stack: false
    .vgpr_count:     0
    .vgpr_spill_count: 0
    .wavefront_size: 64
  - .agpr_count:     0
    .args:
      - .actual_access:  read_only
        .address_space:  global
        .offset:         0
        .size:           8
        .value_kind:     global_buffer
      - .actual_access:  read_only
        .address_space:  global
        .offset:         8
        .size:           8
        .value_kind:     global_buffer
      - .actual_access:  read_only
        .address_space:  global
        .offset:         16
        .size:           8
        .value_kind:     global_buffer
      - .offset:         24
        .size:           1
        .value_kind:     by_value
      - .offset:         25
        .size:           1
        .value_kind:     by_value
      - .offset:         26
        .size:           1
        .value_kind:     by_value
      - .offset:         32
        .size:           56
        .value_kind:     by_value
      - .offset:         88
        .size:           56
        .value_kind:     by_value
      - .offset:         144
        .size:           64
        .value_kind:     by_value
      - .offset:         208
        .size:           68
        .value_kind:     by_value
    .group_segment_fixed_size: 0
    .kernarg_segment_align: 8
    .kernarg_segment_size: 276
    .language:       OpenCL C
    .language_version:
      - 2
      - 0
    .max_flat_workgroup_size: 512
    .name:           _ZN2ck37kernel_gemm_xdl_waveletmodel_cshuffleINS_53GridwiseGemm_k0mk1_k0nk1_mn_xdl_waveletmodel_cshuffleIDF16_fDF16_DF16_NS_16tensor_operation12element_wise11PassThroughES4_S4_LNS_25InMemoryDataOperationEnumE0ENS_16TensorDescriptorINS_5TupleIJNS_5EmbedINS7_IJiiEEENS7_IJiNS_17integral_constantIiLi1EEEEEELb0EEENS_11PassThroughIiEESF_EEENS7_IJNS_8SequenceIJLi0EEEENSH_IJLi1EEEENSH_IJLi2EEEEEEENS7_IJNSH_IJLi1ELi2EEEENSH_IJLi3EEEENSH_IJLi4EEEEEEENSH_IJLi3ELi4EEEElEESR_SR_Li1ELi256ELi256ELi256ELi128ELi32ELi8ELi8ELi16ELi16ELi8ELi2ENSH_IJLi4ELi64ELi1EEEENSH_IJLi1ELi0ELi2EEEEST_Li2ELi8ELi8ELb0ELi1ESS_ST_ST_Li2ELi8ELi8ELb0ELi1ELi1ELi1ENSH_IJLi1ELi32ELi1ELi8EEEELi4EEEDF16_DF16_S4_S4_S4_NS6_INS7_IJSD_SF_SF_NS_7UnMergeINS7_IJiNSA_IiLi8EEEEEELb0EEESF_EEENS7_IJSI_SJ_SK_SO_SN_EEENS7_IJSM_SN_SO_NSH_IJLi5ELi6EEEENSH_IJLi7EEEEEEENSH_IJLi5ELi7ELi6EEEElEES16_NS6_INS7_IJSD_SF_SF_NSW_INS7_IJiNSA_IiLi256EEEEEELb0EEENSW_INS7_IJiNSA_IiLi128EEEEEELb0EEEEEENS7_IJSI_SJ_SK_SN_SO_EEENS7_IJSM_SN_SO_S12_NSH_IJLi7ELi8EEEEEEENSH_IJLi5ELi6ELi7ELi8EEEElEENS_13TensorAdaptorINS7_IJNSW_ISC_Lb0EEES1K_NS_23Merge_v2_magic_divisionINS7_IJiiSB_SB_EEEEEEEENS7_IJSI_SJ_NSH_IJLi2ELi3ELi4ELi5EEEEEEENS7_IJNSH_IJLi2ELi4EEEENSH_IJLi3ELi5EEEENSH_IJLi6EEEEEEENSH_IJLi0ELi1EEEES1T_EELb0EEEvPKT0_S1Z_PT1_T2_T3_T4_T5_T6_T7_T8_
    .private_segment_fixed_size: 0
    .sgpr_count:     6
    .sgpr_spill_count: 0
    .symbol:         _ZN2ck37kernel_gemm_xdl_waveletmodel_cshuffleINS_53GridwiseGemm_k0mk1_k0nk1_mn_xdl_waveletmodel_cshuffleIDF16_fDF16_DF16_NS_16tensor_operation12element_wise11PassThroughES4_S4_LNS_25InMemoryDataOperationEnumE0ENS_16TensorDescriptorINS_5TupleIJNS_5EmbedINS7_IJiiEEENS7_IJiNS_17integral_constantIiLi1EEEEEELb0EEENS_11PassThroughIiEESF_EEENS7_IJNS_8SequenceIJLi0EEEENSH_IJLi1EEEENSH_IJLi2EEEEEEENS7_IJNSH_IJLi1ELi2EEEENSH_IJLi3EEEENSH_IJLi4EEEEEEENSH_IJLi3ELi4EEEElEESR_SR_Li1ELi256ELi256ELi256ELi128ELi32ELi8ELi8ELi16ELi16ELi8ELi2ENSH_IJLi4ELi64ELi1EEEENSH_IJLi1ELi0ELi2EEEEST_Li2ELi8ELi8ELb0ELi1ESS_ST_ST_Li2ELi8ELi8ELb0ELi1ELi1ELi1ENSH_IJLi1ELi32ELi1ELi8EEEELi4EEEDF16_DF16_S4_S4_S4_NS6_INS7_IJSD_SF_SF_NS_7UnMergeINS7_IJiNSA_IiLi8EEEEEELb0EEESF_EEENS7_IJSI_SJ_SK_SO_SN_EEENS7_IJSM_SN_SO_NSH_IJLi5ELi6EEEENSH_IJLi7EEEEEEENSH_IJLi5ELi7ELi6EEEElEES16_NS6_INS7_IJSD_SF_SF_NSW_INS7_IJiNSA_IiLi256EEEEEELb0EEENSW_INS7_IJiNSA_IiLi128EEEEEELb0EEEEEENS7_IJSI_SJ_SK_SN_SO_EEENS7_IJSM_SN_SO_S12_NSH_IJLi7ELi8EEEEEEENSH_IJLi5ELi6ELi7ELi8EEEElEENS_13TensorAdaptorINS7_IJNSW_ISC_Lb0EEES1K_NS_23Merge_v2_magic_divisionINS7_IJiiSB_SB_EEEEEEEENS7_IJSI_SJ_NSH_IJLi2ELi3ELi4ELi5EEEEEEENS7_IJNSH_IJLi2ELi4EEEENSH_IJLi3ELi5EEEENSH_IJLi6EEEEEEENSH_IJLi0ELi1EEEES1T_EELb0EEEvPKT0_S1Z_PT1_T2_T3_T4_T5_T6_T7_T8_.kd
    .uniform_work_group_size: 1
    .uses_dynamic_stack: false
    .vgpr_count:     0
    .vgpr_spill_count: 0
    .wavefront_size: 64
  - .agpr_count:     0
    .args:
      - .actual_access:  read_only
        .address_space:  global
        .offset:         0
        .size:           8
        .value_kind:     global_buffer
      - .actual_access:  read_only
        .address_space:  global
        .offset:         8
        .size:           8
        .value_kind:     global_buffer
      - .actual_access:  write_only
        .address_space:  global
        .offset:         16
        .size:           8
        .value_kind:     global_buffer
      - .offset:         24
        .size:           4
        .value_kind:     by_value
      - .offset:         28
        .size:           4
        .value_kind:     by_value
      - .offset:         32
        .size:           4
        .value_kind:     by_value
      - .offset:         36
        .size:           1
        .value_kind:     by_value
      - .offset:         37
        .size:           1
        .value_kind:     by_value
      - .offset:         38
        .size:           1
        .value_kind:     by_value
      - .offset:         40
        .size:           4
        .value_kind:     hidden_block_count_x
      - .offset:         44
        .size:           4
        .value_kind:     hidden_block_count_y
      - .offset:         48
        .size:           4
        .value_kind:     hidden_block_count_z
      - .offset:         52
        .size:           2
        .value_kind:     hidden_group_size_x
      - .offset:         54
        .size:           2
        .value_kind:     hidden_group_size_y
      - .offset:         56
        .size:           2
        .value_kind:     hidden_group_size_z
      - .offset:         58
        .size:           2
        .value_kind:     hidden_remainder_x
      - .offset:         60
        .size:           2
        .value_kind:     hidden_remainder_y
      - .offset:         62
        .size:           2
        .value_kind:     hidden_remainder_z
      - .offset:         80
        .size:           8
        .value_kind:     hidden_global_offset_x
      - .offset:         88
        .size:           8
        .value_kind:     hidden_global_offset_y
      - .offset:         96
        .size:           8
        .value_kind:     hidden_global_offset_z
      - .offset:         104
        .size:           2
        .value_kind:     hidden_grid_dims
    .group_segment_fixed_size: 0
    .kernarg_segment_align: 8
    .kernarg_segment_size: 296
    .language:       OpenCL C
    .language_version:
      - 2
      - 0
    .max_flat_workgroup_size: 256
    .name:           _ZN2ck17naive_gemm_kernelINS_13tensor_layout4gemm8RowMajorENS2_11ColumnMajorES3_DF16_DF16_DF16_fNS_16tensor_operation12element_wise11PassThroughES7_S7_DF16_DF16_EEvPKT2_PKT3_PT4_iiiT6_T7_T8_
    .private_segment_fixed_size: 0
    .sgpr_count:     18
    .sgpr_spill_count: 0
    .symbol:         _ZN2ck17naive_gemm_kernelINS_13tensor_layout4gemm8RowMajorENS2_11ColumnMajorES3_DF16_DF16_DF16_fNS_16tensor_operation12element_wise11PassThroughES7_S7_DF16_DF16_EEvPKT2_PKT3_PT4_iiiT6_T7_T8_.kd
    .uniform_work_group_size: 1
    .uses_dynamic_stack: false
    .vgpr_count:     9
    .vgpr_spill_count: 0
    .wavefront_size: 64
amdhsa.target:   amdgcn-amd-amdhsa--gfx950
amdhsa.version:
  - 1
  - 2
...

	.end_amdgpu_metadata
